;; amdgpu-corpus repo=ROCm/rocFFT kind=compiled arch=gfx1030 opt=O3
	.text
	.amdgcn_target "amdgcn-amd-amdhsa--gfx1030"
	.amdhsa_code_object_version 6
	.protected	bluestein_single_back_len1768_dim1_dp_op_CI_CI ; -- Begin function bluestein_single_back_len1768_dim1_dp_op_CI_CI
	.globl	bluestein_single_back_len1768_dim1_dp_op_CI_CI
	.p2align	8
	.type	bluestein_single_back_len1768_dim1_dp_op_CI_CI,@function
bluestein_single_back_len1768_dim1_dp_op_CI_CI: ; @bluestein_single_back_len1768_dim1_dp_op_CI_CI
; %bb.0:
	v_mul_u32_u24_e32 v1, 0x1e2, v0
	s_mov_b64 s[62:63], s[2:3]
	s_mov_b64 s[60:61], s[0:1]
	s_load_dwordx4 s[0:3], s[4:5], 0x28
	s_add_u32 s60, s60, s7
	v_lshrrev_b32_e32 v1, 16, v1
	s_addc_u32 s61, s61, 0
	v_mov_b32_e32 v4, 0
	v_add_nc_u32_e32 v3, s6, v1
	v_mov_b32_e32 v2, v3
	buffer_store_dword v2, off, s[60:63], 0 offset:4 ; 4-byte Folded Spill
	buffer_store_dword v3, off, s[60:63], 0 offset:8 ; 4-byte Folded Spill
	s_waitcnt lgkmcnt(0)
	v_cmp_gt_u64_e32 vcc_lo, s[0:1], v[3:4]
	s_and_saveexec_b32 s0, vcc_lo
	s_cbranch_execz .LBB0_23
; %bb.1:
	v_mul_lo_u16 v1, 0x88, v1
	s_clause 0x1
	s_load_dwordx2 s[12:13], s[4:5], 0x0
	s_load_dwordx2 s[14:15], s[4:5], 0x38
	v_sub_nc_u16 v0, v0, v1
	v_and_b32_e32 v1, 0xffff, v0
	v_cmp_gt_u16_e32 vcc_lo, 0x68, v0
	v_lshlrev_b32_e32 v255, 4, v1
	v_or_b32_e32 v0, 0x680, v1
	buffer_store_dword v1, off, s[60:63], 0 ; 4-byte Folded Spill
	buffer_store_dword v0, off, s[60:63], 0 offset:44 ; 4-byte Folded Spill
	s_and_saveexec_b32 s1, vcc_lo
	s_cbranch_execz .LBB0_3
; %bb.2:
	s_load_dwordx2 s[6:7], s[4:5], 0x18
	s_waitcnt lgkmcnt(0)
	global_load_dwordx4 v[0:3], v255, s[12:13] offset:1664
	buffer_load_dword v19, off, s[60:63], 0 ; 4-byte Folded Reload
	v_add_co_u32 v4, s0, s12, v255
	v_add_co_ci_u32_e64 v5, null, s13, 0, s0
	v_add_co_u32 v6, s0, 0x800, v4
	v_add_co_ci_u32_e64 v7, s0, 0, v5, s0
	v_add_co_u32 v10, s0, 0x1000, v4
	v_add_co_ci_u32_e64 v11, s0, 0, v5, s0
	;; [unrolled: 2-line block ×3, first 2 shown]
	s_load_dwordx4 s[8:11], s[6:7], 0x0
	s_clause 0x1
	buffer_load_dword v8, off, s[60:63], 0 offset:4
	buffer_load_dword v9, off, s[60:63], 0 offset:8
	v_add_co_u32 v22, s0, 0x2000, v4
	v_add_co_ci_u32_e64 v23, s0, 0, v5, s0
	v_add_co_u32 v26, s0, 0x2800, v4
	v_add_co_ci_u32_e64 v27, s0, 0, v5, s0
	;; [unrolled: 2-line block ×4, first 2 shown]
	s_waitcnt lgkmcnt(0)
	s_mul_i32 s0, s9, 0x680
	s_mul_hi_u32 s6, s8, 0x680
	s_mul_i32 s7, s8, 0x680
	s_add_i32 s6, s6, s0
	s_waitcnt vmcnt(2)
	v_mad_u64_u32 v[36:37], null, s8, v19, 0
	v_or_b32_e32 v44, 0x680, v19
	v_lshlrev_b32_e32 v90, 4, v44
	v_mov_b32_e32 v18, v37
	v_mad_u64_u32 v[40:41], null, s9, v19, v[18:19]
	s_waitcnt vmcnt(1)
	v_mov_b32_e32 v13, v8
	global_load_dwordx4 v[6:9], v[6:7], off offset:1280
	v_mov_b32_e32 v37, v40
	v_mad_u64_u32 v[40:41], null, s8, v44, 0
	v_mad_u64_u32 v[34:35], null, s10, v13, 0
	v_lshlrev_b64 v[36:37], 4, v[36:37]
	v_mov_b32_e32 v12, v35
	v_mad_u64_u32 v[32:33], null, s11, v13, v[12:13]
	s_clause 0x4
	global_load_dwordx4 v[10:13], v[10:11], off offset:896
	global_load_dwordx4 v[14:17], v[14:15], off offset:512
	;; [unrolled: 1-line block ×5, first 2 shown]
	v_mov_b32_e32 v35, v32
	global_load_dwordx4 v[30:33], v[30:31], off offset:1024
	v_lshlrev_b64 v[34:35], 4, v[34:35]
	v_add_co_u32 v49, s0, s2, v34
	v_add_co_ci_u32_e64 v52, s0, s3, v35, s0
	v_mov_b32_e32 v34, v41
	v_add_co_u32 v42, s0, v49, v36
	v_add_co_ci_u32_e64 v43, s0, v52, v37, s0
	v_mad_u64_u32 v[44:45], null, s9, v44, v[34:35]
	global_load_dwordx4 v[34:37], v[38:39], off offset:640
	v_add_co_u32 v45, s0, v42, s7
	v_add_co_ci_u32_e64 v46, s0, s6, v43, s0
	v_add_co_u32 v47, s0, v45, s7
	v_add_co_ci_u32_e64 v48, s0, s6, v46, s0
	v_mov_b32_e32 v41, v44
	v_add_co_u32 v50, s0, v47, s7
	v_add_co_ci_u32_e64 v51, s0, s6, v48, s0
	v_lshlrev_b64 v[38:39], 4, v[40:41]
	v_add_co_u32 v54, s0, v50, s7
	v_add_co_ci_u32_e64 v55, s0, s6, v51, s0
	v_add_co_u32 v86, s0, v49, v38
	v_add_co_ci_u32_e64 v87, s0, v52, v39, s0
	;; [unrolled: 2-line block ×3, first 2 shown]
	s_clause 0x1
	global_load_dwordx4 v[38:41], v[42:43], off
	global_load_dwordx4 v[42:45], v[45:46], off
	v_add_co_u32 v62, s0, v58, s7
	v_add_co_ci_u32_e64 v63, s0, s6, v59, s0
	s_clause 0x1
	global_load_dwordx4 v[46:49], v[47:48], off
	global_load_dwordx4 v[50:53], v[50:51], off
	v_add_co_u32 v66, s0, v62, s7
	v_add_co_ci_u32_e64 v67, s0, s6, v63, s0
	global_load_dwordx4 v[54:57], v[54:55], off
	v_add_co_u32 v70, s0, v66, s7
	v_add_co_ci_u32_e64 v71, s0, s6, v67, s0
	;; [unrolled: 3-line block ×3, first 2 shown]
	v_add_co_u32 v94, s0, v74, s7
	v_add_co_ci_u32_e64 v95, s0, s6, v75, s0
	global_load_dwordx4 v[62:65], v[62:63], off
	global_load_dwordx4 v[66:69], v[66:67], off
	;; [unrolled: 1-line block ×5, first 2 shown]
	global_load_dwordx4 v[82:85], v255, s[12:13]
	global_load_dwordx4 v[86:89], v[86:87], off
	global_load_dwordx4 v[90:93], v90, s[12:13]
	v_add_co_u32 v98, s0, v94, s7
	v_add_co_ci_u32_e64 v99, s0, s6, v95, s0
	v_add_co_u32 v102, s0, 0x4000, v4
	v_add_co_ci_u32_e64 v103, s0, 0, v5, s0
	;; [unrolled: 2-line block ×8, first 2 shown]
	v_add_co_u32 v4, s0, 0x6000, v4
	global_load_dwordx4 v[94:97], v[98:99], off
	v_add_co_ci_u32_e64 v5, s0, 0, v5, s0
	v_add_co_u32 v134, s0, v122, s7
	s_clause 0x1
	global_load_dwordx4 v[98:101], v[102:103], off offset:256
	global_load_dwordx4 v[102:105], v[102:103], off offset:1920
	global_load_dwordx4 v[106:109], v[106:107], off
	global_load_dwordx4 v[110:113], v[110:111], off offset:1536
	global_load_dwordx4 v[114:117], v[118:119], off
	v_add_co_ci_u32_e64 v135, s0, s6, v123, s0
	global_load_dwordx4 v[118:121], v[120:121], off offset:1152
	global_load_dwordx4 v[122:125], v[122:123], off
	s_clause 0x1
	global_load_dwordx4 v[126:129], v[126:127], off offset:768
	global_load_dwordx4 v[130:133], v[4:5], off offset:384
	global_load_dwordx4 v[134:137], v[134:135], off
	s_waitcnt vmcnt(23)
	v_mul_f64 v[140:141], v[44:45], v[2:3]
	v_mul_f64 v[142:143], v[42:43], v[2:3]
	s_waitcnt vmcnt(22)
	v_mul_f64 v[144:145], v[48:49], v[8:9]
	v_mul_f64 v[146:147], v[46:47], v[8:9]
	;; [unrolled: 3-line block ×6, first 2 shown]
	v_fma_f64 v[2:3], v[38:39], v[82:83], v[4:5]
	v_fma_f64 v[4:5], v[40:41], v[82:83], -v[84:85]
	v_mul_f64 v[82:83], v[60:61], v[20:21]
	v_mul_f64 v[20:21], v[58:59], v[20:21]
	v_fma_f64 v[38:39], v[42:43], v[0:1], v[140:141]
	v_fma_f64 v[40:41], v[44:45], v[0:1], -v[142:143]
	v_mul_f64 v[0:1], v[64:65], v[24:25]
	v_mul_f64 v[24:25], v[62:63], v[24:25]
	;; [unrolled: 4-line block ×4, first 2 shown]
	v_mul_f64 v[50:51], v[76:77], v[36:37]
	v_mul_f64 v[36:37], v[74:75], v[36:37]
	v_fma_f64 v[12:13], v[54:55], v[14:15], v[150:151]
	s_waitcnt vmcnt(9)
	v_mul_f64 v[52:53], v[80:81], v[100:101]
	v_mul_f64 v[54:55], v[78:79], v[100:101]
	v_fma_f64 v[14:15], v[56:57], v[14:15], -v[16:17]
	s_waitcnt vmcnt(8)
	v_mul_f64 v[56:57], v[96:97], v[104:105]
	v_mul_f64 v[84:85], v[94:95], v[104:105]
	v_fma_f64 v[8:9], v[86:87], v[90:91], v[138:139]
	s_waitcnt vmcnt(6)
	v_mul_f64 v[86:87], v[108:109], v[112:113]
	v_mul_f64 v[100:101], v[106:107], v[112:113]
	s_waitcnt vmcnt(4)
	v_mul_f64 v[104:105], v[116:117], v[120:121]
	v_mul_f64 v[112:113], v[114:115], v[120:121]
	;; [unrolled: 3-line block ×4, first 2 shown]
	v_fma_f64 v[16:17], v[58:59], v[18:19], v[82:83]
	v_fma_f64 v[18:19], v[60:61], v[18:19], -v[20:21]
	v_fma_f64 v[20:21], v[62:63], v[22:23], v[0:1]
	v_fma_f64 v[22:23], v[64:65], v[22:23], -v[24:25]
	;; [unrolled: 2-line block ×11, first 2 shown]
	v_fma_f64 v[10:11], v[88:89], v[90:91], -v[92:93]
	ds_write_b128 v255, v[2:5]
	ds_write_b128 v255, v[38:41] offset:1664
	ds_write_b128 v255, v[42:45] offset:3328
	;; [unrolled: 1-line block ×16, first 2 shown]
.LBB0_3:
	s_or_b32 exec_lo, exec_lo, s1
	s_clause 0x1
	s_load_dwordx2 s[0:1], s[4:5], 0x20
	s_load_dwordx2 s[2:3], s[4:5], 0x8
	s_waitcnt lgkmcnt(0)
	s_waitcnt_vscnt null, 0x0
	s_barrier
	buffer_gl0_inv
                                        ; implicit-def: $vgpr4_vgpr5
                                        ; implicit-def: $vgpr32_vgpr33
                                        ; implicit-def: $vgpr44_vgpr45
                                        ; implicit-def: $vgpr56_vgpr57
                                        ; implicit-def: $vgpr64_vgpr65
                                        ; implicit-def: $vgpr36_vgpr37
                                        ; implicit-def: $vgpr20_vgpr21
                                        ; implicit-def: $vgpr12_vgpr13
                                        ; implicit-def: $vgpr8_vgpr9
                                        ; implicit-def: $vgpr16_vgpr17
                                        ; implicit-def: $vgpr24_vgpr25
                                        ; implicit-def: $vgpr28_vgpr29
                                        ; implicit-def: $vgpr68_vgpr69
                                        ; implicit-def: $vgpr60_vgpr61
                                        ; implicit-def: $vgpr52_vgpr53
                                        ; implicit-def: $vgpr48_vgpr49
                                        ; implicit-def: $vgpr40_vgpr41
	s_and_saveexec_b32 s4, vcc_lo
	s_cbranch_execz .LBB0_5
; %bb.4:
	ds_read_b128 v[4:7], v255
	ds_read_b128 v[40:43], v255 offset:1664
	ds_read_b128 v[32:35], v255 offset:3328
	;; [unrolled: 1-line block ×16, first 2 shown]
.LBB0_5:
	s_or_b32 exec_lo, exec_lo, s4
	s_waitcnt lgkmcnt(1)
	v_add_f64 v[74:75], v[32:33], -v[12:13]
	v_add_f64 v[80:81], v[50:51], -v[18:19]
	s_mov_b32 s10, 0x2a9d6da3
	s_mov_b32 s6, 0x7c9e640b
	;; [unrolled: 1-line block ×4, first 2 shown]
	v_add_f64 v[82:83], v[48:49], -v[16:17]
	v_add_f64 v[90:91], v[54:55], -v[22:23]
	s_mov_b32 s20, 0xeb564b22
	s_mov_b32 s21, 0xbfefdd0d
	s_waitcnt lgkmcnt(0)
	v_add_f64 v[146:147], v[42:43], -v[10:11]
	s_mov_b32 s4, 0x5d8e7cdc
	s_mov_b32 s5, 0xbfd71e95
	v_add_f64 v[142:143], v[8:9], v[40:41]
	v_add_f64 v[198:199], v[40:41], -v[8:9]
	v_add_f64 v[78:79], v[34:35], -v[14:15]
	s_mov_b32 s8, 0x370991
	s_mov_b32 s9, 0x3fedd6d0
	v_add_f64 v[72:73], v[32:33], v[12:13]
	v_add_f64 v[196:197], v[10:11], v[42:43]
	s_mov_b32 s16, 0x75d4884
	s_mov_b32 s17, 0x3fe7a5f6
	v_mul_f64 v[96:97], v[74:75], s[10:11]
	v_mul_f64 v[98:99], v[80:81], s[6:7]
	v_add_f64 v[86:87], v[34:35], v[14:15]
	v_add_f64 v[76:77], v[16:17], v[48:49]
	v_add_f64 v[88:89], v[52:53], -v[20:21]
	s_mov_b32 s18, 0x2b2883cd
	v_mul_f64 v[102:103], v[82:83], s[6:7]
	v_mul_f64 v[100:101], v[90:91], s[20:21]
	s_mov_b32 s19, 0x3fdc86fa
	v_add_f64 v[84:85], v[20:21], v[52:53]
	v_mul_f64 v[194:195], v[146:147], s[4:5]
	s_mov_b32 s22, 0x3259b75e
	s_mov_b32 s23, 0x3fb79ee6
	v_add_f64 v[120:121], v[46:47], -v[26:27]
	v_mul_f64 v[200:201], v[198:199], s[4:5]
	v_mul_f64 v[168:169], v[78:79], s[10:11]
	s_mov_b32 s28, 0x923c349f
	s_mov_b32 s29, 0x3feec746
	;; [unrolled: 1-line block ×4, first 2 shown]
	v_add_f64 v[94:95], v[18:19], v[50:51]
	v_add_f64 v[122:123], v[22:23], v[54:55]
	buffer_store_dword v96, off, s[60:63], 0 offset:28 ; 4-byte Folded Spill
	buffer_store_dword v97, off, s[60:63], 0 offset:32 ; 4-byte Folded Spill
	;; [unrolled: 1-line block ×8, first 2 shown]
	v_mul_f64 v[104:105], v[88:89], s[20:21]
	buffer_store_dword v104, off, s[60:63], 0 offset:80 ; 4-byte Folded Spill
	buffer_store_dword v105, off, s[60:63], 0 offset:84 ; 4-byte Folded Spill
	v_fma_f64 v[0:1], v[142:143], s[8:9], v[194:195]
	v_fma_f64 v[2:3], v[196:197], s[8:9], -v[200:201]
	v_fma_f64 v[92:93], v[72:73], s[16:17], v[168:169]
	s_mov_b32 s24, 0xc61f0d01
	s_mov_b32 s25, 0xbfd183b1
	v_add_f64 v[138:139], v[46:47], v[26:27]
	s_mov_b32 s34, 0x6c9a05f6
	s_mov_b32 s35, 0xbfe9895b
	v_add_f64 v[124:125], v[60:61], -v[28:29]
	s_mov_b32 s30, 0x6ed5f1bb
	s_mov_b32 s31, 0xbfe348c8
	v_add_f64 v[132:133], v[30:31], v[62:63]
	v_add_f64 v[130:131], v[58:59], -v[38:39]
	s_mov_b32 s46, 0x4363dd80
	s_mov_b32 s47, 0x3fe0d888
	;; [unrolled: 1-line block ×4, first 2 shown]
	v_add_f64 v[128:129], v[56:57], -v[36:37]
	s_mov_b32 s40, 0x910ea3b9
	s_mov_b32 s41, 0xbfeb34fa
	v_add_f64 v[136:137], v[58:59], v[38:39]
	v_add_f64 v[126:127], v[66:67], -v[70:71]
	v_add_f64 v[0:1], v[4:5], v[0:1]
	v_add_f64 v[2:3], v[6:7], v[2:3]
	s_mov_b32 s38, 0xacd6c6b4
	s_mov_b32 s39, 0xbfc7851a
	;; [unrolled: 1-line block ×4, first 2 shown]
	v_add_f64 v[134:135], v[66:67], v[70:71]
	v_mul_f64 v[154:155], v[146:147], s[10:11]
	v_mul_f64 v[208:209], v[124:125], s[34:35]
	;; [unrolled: 1-line block ×13, first 2 shown]
	s_mov_b32 s45, 0x3feca52d
	v_mul_f64 v[210:211], v[126:127], s[38:39]
	v_add_f64 v[0:1], v[92:93], v[0:1]
	s_mov_b32 s44, s6
	s_mov_b32 s49, 0x3fd71e95
	v_mul_f64 v[230:231], v[130:131], s[44:45]
	v_mul_f64 v[247:248], v[128:129], s[44:45]
	s_mov_b32 s48, s4
	v_mul_f64 v[158:159], v[146:147], s[6:7]
	v_mul_f64 v[232:233], v[126:127], s[48:49]
	;; [unrolled: 1-line block ×3, first 2 shown]
	v_fma_f64 v[110:111], v[72:73], s[22:23], v[214:215]
	v_mul_f64 v[160:161], v[198:199], s[6:7]
	v_fma_f64 v[112:113], v[86:87], s[22:23], -v[220:221]
	v_mul_f64 v[251:252], v[74:75], s[34:35]
	s_mov_b32 s51, 0x3fc7851a
	s_mov_b32 s50, s38
	v_mul_f64 v[243:244], v[90:91], s[28:29]
	v_mul_f64 v[241:242], v[80:81], s[50:51]
	;; [unrolled: 1-line block ×4, first 2 shown]
	s_mov_b32 s53, 0x3fe58eea
	s_mov_b32 s52, s10
	v_mul_f64 v[150:151], v[124:125], s[4:5]
	v_mul_f64 v[253:254], v[120:121], s[52:53]
	;; [unrolled: 1-line block ×9, first 2 shown]
	v_fma_f64 v[114:115], v[72:73], s[30:31], v[234:235]
	v_mul_f64 v[182:183], v[124:125], s[42:43]
	s_mov_b32 s55, 0x3fe9895b
	s_mov_b32 s54, s34
	v_fma_f64 v[116:117], v[86:87], s[30:31], -v[251:252]
	v_mul_f64 v[186:187], v[128:129], s[54:55]
	v_fma_f64 v[170:171], v[86:87], s[36:37], -v[180:181]
	v_fma_f64 v[96:97], v[86:87], s[16:17], -v[96:97]
	v_fma_f64 v[98:99], v[76:77], s[18:19], v[98:99]
	v_fma_f64 v[92:93], v[94:95], s[18:19], -v[102:103]
	v_add_f64 v[102:103], v[44:45], -v[24:25]
	v_add_f64 v[2:3], v[96:97], v[2:3]
	v_add_f64 v[0:1], v[98:99], v[0:1]
	v_fma_f64 v[96:97], v[84:85], s[22:23], v[100:101]
	v_add_f64 v[98:99], v[28:29], v[60:61]
	v_add_f64 v[100:101], v[56:57], v[36:37]
	v_mul_f64 v[204:205], v[102:103], s[26:27]
	v_mul_f64 v[239:240], v[102:103], s[46:47]
	v_mul_f64 v[152:153], v[102:103], s[52:53]
	v_mul_f64 v[190:191], v[102:103], s[6:7]
	v_add_f64 v[2:3], v[92:93], v[2:3]
	v_fma_f64 v[92:93], v[122:123], s[22:23], -v[104:105]
	v_add_f64 v[0:1], v[96:97], v[0:1]
	v_mul_f64 v[96:97], v[120:121], s[26:27]
	v_add_f64 v[104:105], v[62:63], -v[30:31]
	buffer_store_dword v96, off, s[60:63], 0 offset:160 ; 4-byte Folded Spill
	buffer_store_dword v97, off, s[60:63], 0 offset:164 ; 4-byte Folded Spill
	v_add_f64 v[2:3], v[92:93], v[2:3]
	v_add_f64 v[92:93], v[44:45], v[24:25]
	v_mul_f64 v[202:203], v[104:105], s[34:35]
	v_mul_f64 v[228:229], v[104:105], s[28:29]
	;; [unrolled: 1-line block ×3, first 2 shown]
	v_fma_f64 v[96:97], v[92:93], s[24:25], v[96:97]
	v_add_f64 v[0:1], v[96:97], v[0:1]
	v_fma_f64 v[96:97], v[138:139], s[24:25], -v[204:205]
	v_add_f64 v[2:3], v[96:97], v[2:3]
	v_fma_f64 v[96:97], v[98:99], s[30:31], v[202:203]
	v_add_f64 v[0:1], v[96:97], v[0:1]
	v_fma_f64 v[96:97], v[132:133], s[30:31], -v[208:209]
	v_add_f64 v[2:3], v[96:97], v[2:3]
	;; [unrolled: 4-line block ×3, first 2 shown]
	v_add_f64 v[96:97], v[64:65], v[68:69]
	v_fma_f64 v[106:107], v[96:97], s[36:37], v[210:211]
	v_add_f64 v[0:1], v[106:107], v[0:1]
	v_add_f64 v[106:107], v[64:65], -v[68:69]
	v_mul_f64 v[216:217], v[106:107], s[38:39]
	v_mul_f64 v[249:250], v[106:107], s[48:49]
	v_mul_f64 v[174:175], v[106:107], s[42:43]
	v_fma_f64 v[108:109], v[134:135], s[36:37], -v[216:217]
	v_add_f64 v[2:3], v[108:109], v[2:3]
	v_fma_f64 v[108:109], v[142:143], s[16:17], v[154:155]
	v_add_f64 v[108:109], v[4:5], v[108:109]
	v_add_f64 v[108:109], v[110:111], v[108:109]
	v_fma_f64 v[110:111], v[196:197], s[16:17], -v[156:157]
	v_add_f64 v[110:111], v[6:7], v[110:111]
	v_add_f64 v[110:111], v[112:113], v[110:111]
	v_fma_f64 v[112:113], v[76:77], s[30:31], v[218:219]
	v_add_f64 v[108:109], v[112:113], v[108:109]
	v_fma_f64 v[112:113], v[94:95], s[30:31], -v[224:225]
	v_add_f64 v[110:111], v[112:113], v[110:111]
	v_fma_f64 v[112:113], v[84:85], s[36:37], v[222:223]
	v_add_f64 v[108:109], v[112:113], v[108:109]
	v_fma_f64 v[112:113], v[122:123], s[36:37], -v[237:238]
	;; [unrolled: 4-line block ×6, first 2 shown]
	v_add_f64 v[110:111], v[112:113], v[110:111]
	v_fma_f64 v[112:113], v[142:143], s[18:19], v[158:159]
	v_add_f64 v[112:113], v[4:5], v[112:113]
	v_add_f64 v[112:113], v[114:115], v[112:113]
	v_fma_f64 v[114:115], v[196:197], s[18:19], -v[160:161]
	v_add_f64 v[114:115], v[6:7], v[114:115]
	v_add_f64 v[114:115], v[116:117], v[114:115]
	v_fma_f64 v[116:117], v[76:77], s[36:37], v[241:242]
	v_add_f64 v[112:113], v[116:117], v[112:113]
	v_fma_f64 v[116:117], v[94:95], s[36:37], -v[144:145]
	v_add_f64 v[114:115], v[116:117], v[114:115]
	v_fma_f64 v[116:117], v[84:85], s[24:25], v[243:244]
	v_add_f64 v[112:113], v[116:117], v[112:113]
	v_fma_f64 v[116:117], v[122:123], s[24:25], -v[148:149]
	;; [unrolled: 4-line block ×4, first 2 shown]
	v_add_f64 v[114:115], v[116:117], v[114:115]
	v_mul_f64 v[116:117], v[130:131], s[20:21]
	buffer_store_dword v116, off, s[60:63], 0 offset:112 ; 4-byte Folded Spill
	buffer_store_dword v117, off, s[60:63], 0 offset:116 ; 4-byte Folded Spill
	v_fma_f64 v[116:117], v[100:101], s[22:23], v[116:117]
	v_add_f64 v[112:113], v[116:117], v[112:113]
	v_mul_f64 v[116:117], v[128:129], s[20:21]
	buffer_store_dword v116, off, s[60:63], 0 offset:168 ; 4-byte Folded Spill
	buffer_store_dword v117, off, s[60:63], 0 offset:172 ; 4-byte Folded Spill
	v_fma_f64 v[116:117], v[136:137], s[22:23], -v[116:117]
	v_add_f64 v[114:115], v[116:117], v[114:115]
	v_mul_f64 v[116:117], v[126:127], s[42:43]
	buffer_store_dword v116, off, s[60:63], 0 offset:128 ; 4-byte Folded Spill
	buffer_store_dword v117, off, s[60:63], 0 offset:132 ; 4-byte Folded Spill
	;; [unrolled: 1-line block ×6, first 2 shown]
	v_fma_f64 v[116:117], v[96:97], s[40:41], v[116:117]
	v_fma_f64 v[118:119], v[72:73], s[36:37], v[118:119]
	v_add_f64 v[112:113], v[116:117], v[112:113]
	v_fma_f64 v[116:117], v[134:135], s[40:41], -v[174:175]
	v_add_f64 v[114:115], v[116:117], v[114:115]
	v_fma_f64 v[116:117], v[142:143], s[22:23], v[162:163]
	v_add_f64 v[116:117], v[4:5], v[116:117]
	v_add_f64 v[116:117], v[118:119], v[116:117]
	v_fma_f64 v[118:119], v[196:197], s[22:23], -v[164:165]
	v_add_f64 v[118:119], v[6:7], v[118:119]
	v_add_f64 v[118:119], v[170:171], v[118:119]
	v_fma_f64 v[170:171], v[76:77], s[24:25], v[166:167]
	v_mul_f64 v[166:167], v[90:91], s[48:49]
	buffer_store_dword v166, off, s[60:63], 0 offset:152 ; 4-byte Folded Spill
	buffer_store_dword v167, off, s[60:63], 0 offset:156 ; 4-byte Folded Spill
	v_add_f64 v[116:117], v[170:171], v[116:117]
	v_fma_f64 v[170:171], v[94:95], s[24:25], -v[184:185]
	s_waitcnt_vscnt null, 0x0
	s_barrier
	buffer_gl0_inv
	v_add_f64 v[118:119], v[170:171], v[118:119]
	v_fma_f64 v[170:171], v[84:85], s[8:9], v[166:167]
	v_add_f64 v[116:117], v[170:171], v[116:117]
	v_fma_f64 v[170:171], v[122:123], s[8:9], -v[188:189]
	v_add_f64 v[118:119], v[170:171], v[118:119]
	v_mul_f64 v[170:171], v[120:121], s[6:7]
	v_fma_f64 v[172:173], v[92:93], s[18:19], v[170:171]
	v_add_f64 v[116:117], v[172:173], v[116:117]
	v_fma_f64 v[172:173], v[138:139], s[18:19], -v[190:191]
	v_add_f64 v[118:119], v[172:173], v[118:119]
	v_mul_f64 v[172:173], v[104:105], s[42:43]
	;; [unrolled: 5-line block ×4, first 2 shown]
	v_fma_f64 v[192:193], v[96:97], s[16:17], v[178:179]
	v_add_f64 v[116:117], v[192:193], v[116:117]
	v_mul_f64 v[192:193], v[106:107], s[52:53]
	v_fma_f64 v[166:167], v[134:135], s[16:17], -v[192:193]
	v_add_f64 v[118:119], v[166:167], v[118:119]
	s_and_saveexec_b32 s33, vcc_lo
	s_cbranch_execz .LBB0_7
; %bb.6:
	v_add_f64 v[40:41], v[4:5], v[40:41]
	v_add_f64 v[42:43], v[6:7], v[42:43]
	s_mov_b32 s57, 0x3fefdd0d
	s_mov_b32 s56, s20
	v_mul_f64 v[166:167], v[94:95], s[18:19]
	v_add_f64 v[32:33], v[32:33], v[40:41]
	v_add_f64 v[34:35], v[34:35], v[42:43]
	;; [unrolled: 1-line block ×4, first 2 shown]
	v_mul_f64 v[48:49], v[146:147], s[26:27]
	v_add_f64 v[32:33], v[52:53], v[32:33]
	v_add_f64 v[34:35], v[54:55], v[34:35]
	v_add_f64 v[32:33], v[44:45], v[32:33]
	v_add_f64 v[34:35], v[46:47], v[34:35]
	v_mul_f64 v[46:47], v[146:147], s[34:35]
	v_mul_f64 v[44:45], v[146:147], s[42:43]
	v_add_f64 v[32:33], v[60:61], v[32:33]
	v_add_f64 v[34:35], v[62:63], v[34:35]
	v_fma_f64 v[54:55], v[142:143], s[30:31], v[46:47]
	v_fma_f64 v[52:53], v[142:143], s[40:41], v[44:45]
	v_fma_f64 v[44:45], v[142:143], s[40:41], -v[44:45]
	v_fma_f64 v[46:47], v[142:143], s[30:31], -v[46:47]
	v_add_f64 v[32:33], v[56:57], v[32:33]
	v_add_f64 v[34:35], v[58:59], v[34:35]
	v_fma_f64 v[56:57], v[142:143], s[24:25], v[48:49]
	v_mul_f64 v[58:59], v[142:143], s[8:9]
	v_fma_f64 v[48:49], v[142:143], s[24:25], -v[48:49]
	v_add_f64 v[52:53], v[4:5], v[52:53]
	v_add_f64 v[44:45], v[4:5], v[44:45]
	;; [unrolled: 1-line block ×5, first 2 shown]
	v_add_f64 v[58:59], v[58:59], -v[194:195]
	v_mul_f64 v[194:195], v[76:77], s[18:19]
	v_add_f64 v[32:33], v[68:69], v[32:33]
	v_add_f64 v[34:35], v[70:71], v[34:35]
	v_mul_f64 v[68:69], v[122:123], s[16:17]
	v_mul_f64 v[70:71], v[90:91], s[52:53]
	v_add_f64 v[32:33], v[36:37], v[32:33]
	v_add_f64 v[34:35], v[38:39], v[34:35]
	;; [unrolled: 1-line block ×9, first 2 shown]
	v_mul_f64 v[20:21], v[196:197], s[30:31]
	v_add_f64 v[18:19], v[18:19], v[22:23]
	v_add_f64 v[12:13], v[12:13], v[16:17]
	v_fma_f64 v[22:23], v[198:199], s[54:55], v[20:21]
	v_fma_f64 v[24:25], v[198:199], s[34:35], v[20:21]
	v_mul_f64 v[20:21], v[196:197], s[24:25]
	v_add_f64 v[14:15], v[14:15], v[18:19]
	v_mul_f64 v[16:17], v[196:197], s[40:41]
	v_add_f64 v[8:9], v[8:9], v[12:13]
	;; [unrolled: 2-line block ×3, first 2 shown]
	v_fma_f64 v[26:27], v[198:199], s[28:29], v[20:21]
	v_fma_f64 v[28:29], v[198:199], s[26:27], v[20:21]
	v_mul_f64 v[20:21], v[196:197], s[22:23]
	v_add_f64 v[10:11], v[10:11], v[14:15]
	v_fma_f64 v[18:19], v[198:199], s[46:47], v[16:17]
	v_fma_f64 v[16:17], v[198:199], s[42:43], v[16:17]
	v_add_f64 v[24:25], v[6:7], v[24:25]
	v_fma_f64 v[14:15], v[198:199], s[50:51], v[12:13]
	v_fma_f64 v[12:13], v[198:199], s[38:39], v[12:13]
	v_mul_f64 v[198:199], v[84:85], s[22:23]
	v_add_f64 v[30:31], v[164:165], v[20:21]
	v_mul_f64 v[20:21], v[142:143], s[22:23]
	v_add_f64 v[64:65], v[6:7], v[18:19]
	v_add_f64 v[66:67], v[6:7], v[16:17]
	;; [unrolled: 1-line block ×6, first 2 shown]
	s_clause 0x1
	buffer_load_dword v164, off, s[60:63], 0 offset:28
	buffer_load_dword v165, off, s[60:63], 0 offset:32
	v_mul_f64 v[58:59], v[80:81], s[42:43]
	v_mul_f64 v[18:19], v[126:127], s[56:57]
	v_add_f64 v[14:15], v[6:7], v[14:15]
	v_add_f64 v[60:61], v[6:7], v[12:13]
	;; [unrolled: 1-line block ×3, first 2 shown]
	v_mul_f64 v[56:57], v[78:79], s[48:49]
	v_add_f64 v[30:31], v[6:7], v[30:31]
	v_add_f64 v[32:33], v[20:21], -v[162:163]
	v_mul_f64 v[20:21], v[196:197], s[18:19]
	v_add_f64 v[32:33], v[4:5], v[32:33]
	v_add_f64 v[34:35], v[160:161], v[20:21]
	v_mul_f64 v[20:21], v[142:143], s[18:19]
	v_mul_f64 v[160:161], v[130:131], s[26:27]
	v_add_f64 v[34:35], v[6:7], v[34:35]
	v_add_f64 v[36:37], v[20:21], -v[158:159]
	v_mul_f64 v[20:21], v[196:197], s[16:17]
	v_mul_f64 v[158:159], v[136:137], s[24:25]
	v_add_f64 v[36:37], v[4:5], v[36:37]
	v_add_f64 v[38:39], v[156:157], v[20:21]
	v_mul_f64 v[20:21], v[142:143], s[16:17]
	v_mul_f64 v[156:157], v[104:105], s[44:45]
	v_add_f64 v[38:39], v[6:7], v[38:39]
	v_add_f64 v[40:41], v[20:21], -v[154:155]
	v_mul_f64 v[20:21], v[196:197], s[8:9]
	v_mul_f64 v[154:155], v[132:133], s[18:19]
	;; [unrolled: 1-line block ×3, first 2 shown]
	v_add_f64 v[40:41], v[4:5], v[40:41]
	v_add_f64 v[42:43], v[200:201], v[20:21]
	v_mul_f64 v[20:21], v[146:147], s[38:39]
	v_mul_f64 v[146:147], v[120:121], s[34:35]
	;; [unrolled: 1-line block ×3, first 2 shown]
	v_add_f64 v[42:43], v[6:7], v[42:43]
	v_fma_f64 v[50:51], v[142:143], s[36:37], v[20:21]
	v_fma_f64 v[20:21], v[142:143], s[36:37], -v[20:21]
	v_fma_f64 v[6:7], v[72:73], s[8:9], v[56:57]
	v_mul_f64 v[142:143], v[138:139], s[30:31]
	v_add_f64 v[200:201], v[204:205], v[200:201]
	v_mul_f64 v[204:205], v[92:93], s[24:25]
	v_fma_f64 v[56:57], v[72:73], s[8:9], -v[56:57]
	v_add_f64 v[50:51], v[4:5], v[50:51]
	v_add_f64 v[62:63], v[4:5], v[20:21]
	;; [unrolled: 1-line block ×3, first 2 shown]
	v_mul_f64 v[54:55], v[86:87], s[8:9]
	v_add_f64 v[6:7], v[6:7], v[50:51]
	v_mul_f64 v[50:51], v[94:95], s[40:41]
	v_add_f64 v[56:57], v[56:57], v[62:63]
	v_fma_f64 v[4:5], v[74:75], s[4:5], v[54:55]
	v_fma_f64 v[54:55], v[74:75], s[48:49], v[54:55]
	v_add_f64 v[4:5], v[4:5], v[14:15]
	v_fma_f64 v[14:15], v[82:83], s[46:47], v[50:51]
	v_add_f64 v[54:55], v[54:55], v[60:61]
	v_fma_f64 v[50:51], v[82:83], s[42:43], v[50:51]
	v_mul_f64 v[60:61], v[86:87], s[18:19]
	v_add_f64 v[4:5], v[14:15], v[4:5]
	v_fma_f64 v[14:15], v[76:77], s[40:41], v[58:59]
	v_add_f64 v[50:51], v[50:51], v[54:55]
	v_fma_f64 v[54:55], v[76:77], s[40:41], -v[58:59]
	v_fma_f64 v[62:63], v[74:75], s[6:7], v[60:61]
	v_fma_f64 v[60:61], v[74:75], s[44:45], v[60:61]
	v_add_f64 v[6:7], v[14:15], v[6:7]
	v_fma_f64 v[14:15], v[88:89], s[10:11], v[68:69]
	v_add_f64 v[54:55], v[54:55], v[56:57]
	v_mul_f64 v[56:57], v[94:95], s[22:23]
	v_add_f64 v[62:63], v[62:63], v[64:65]
	v_mul_f64 v[64:65], v[78:79], s[44:45]
	v_add_f64 v[60:61], v[60:61], v[66:67]
	v_add_f64 v[4:5], v[14:15], v[4:5]
	v_fma_f64 v[14:15], v[84:85], s[16:17], v[70:71]
	v_fma_f64 v[58:59], v[82:83], s[56:57], v[56:57]
	;; [unrolled: 1-line block ×3, first 2 shown]
	v_add_f64 v[6:7], v[14:15], v[6:7]
	v_fma_f64 v[14:15], v[102:103], s[54:55], v[142:143]
	v_add_f64 v[58:59], v[58:59], v[62:63]
	v_mul_f64 v[62:63], v[80:81], s[20:21]
	v_add_f64 v[56:57], v[56:57], v[60:61]
	v_add_f64 v[4:5], v[14:15], v[4:5]
	v_fma_f64 v[14:15], v[92:93], s[30:31], v[146:147]
	v_fma_f64 v[60:61], v[76:77], s[22:23], -v[62:63]
	v_add_f64 v[6:7], v[14:15], v[6:7]
	v_fma_f64 v[14:15], v[124:125], s[6:7], v[154:155]
	v_add_f64 v[4:5], v[14:15], v[4:5]
	v_fma_f64 v[14:15], v[98:99], s[18:19], v[156:157]
	;; [unrolled: 2-line block ×4, first 2 shown]
	v_add_f64 v[162:163], v[14:15], v[6:7]
	v_mul_f64 v[14:15], v[134:135], s[22:23]
	v_fma_f64 v[6:7], v[106:107], s[20:21], v[14:15]
	v_fma_f64 v[14:15], v[106:107], s[56:57], v[14:15]
	v_add_f64 v[6:7], v[6:7], v[4:5]
	v_fma_f64 v[4:5], v[96:97], s[22:23], v[18:19]
	v_fma_f64 v[18:19], v[96:97], s[22:23], -v[18:19]
	v_add_f64 v[4:5], v[4:5], v[162:163]
	v_mul_f64 v[162:163], v[86:87], s[16:17]
	s_waitcnt vmcnt(0)
	v_add_f64 v[162:163], v[164:165], v[162:163]
	v_mul_f64 v[164:165], v[72:73], s[16:17]
	v_add_f64 v[42:43], v[162:163], v[42:43]
	v_add_f64 v[164:165], v[164:165], -v[168:169]
	s_clause 0x1
	buffer_load_dword v168, off, s[60:63], 0 offset:64
	buffer_load_dword v169, off, s[60:63], 0 offset:68
	v_add_f64 v[48:49], v[164:165], v[48:49]
	s_waitcnt vmcnt(0)
	v_add_f64 v[166:167], v[168:169], v[166:167]
	s_clause 0x1
	buffer_load_dword v168, off, s[60:63], 0 offset:12
	buffer_load_dword v169, off, s[60:63], 0 offset:16
	v_add_f64 v[42:43], v[166:167], v[42:43]
	s_waitcnt vmcnt(0)
	v_add_f64 v[194:195], v[194:195], -v[168:169]
	s_clause 0x1
	buffer_load_dword v168, off, s[60:63], 0 offset:80
	buffer_load_dword v169, off, s[60:63], 0 offset:84
	v_add_f64 v[48:49], v[194:195], v[48:49]
	s_waitcnt vmcnt(0)
	v_add_f64 v[196:197], v[168:169], v[196:197]
	s_clause 0x1
	buffer_load_dword v168, off, s[60:63], 0 offset:48
	buffer_load_dword v169, off, s[60:63], 0 offset:52
	v_add_f64 v[42:43], v[196:197], v[42:43]
	v_add_f64 v[42:43], v[200:201], v[42:43]
	s_waitcnt vmcnt(0)
	v_add_f64 v[198:199], v[198:199], -v[168:169]
	s_clause 0x1
	buffer_load_dword v168, off, s[60:63], 0 offset:160
	buffer_load_dword v169, off, s[60:63], 0 offset:164
	v_add_f64 v[48:49], v[198:199], v[48:49]
	s_waitcnt vmcnt(0)
	v_add_f64 v[204:205], v[204:205], -v[168:169]
	v_mul_f64 v[168:169], v[132:133], s[30:31]
	v_add_f64 v[48:49], v[204:205], v[48:49]
	v_add_f64 v[168:169], v[208:209], v[168:169]
	v_mul_f64 v[208:209], v[98:99], s[30:31]
	v_add_f64 v[42:43], v[168:169], v[42:43]
	v_add_f64 v[202:203], v[208:209], -v[202:203]
	v_mul_f64 v[208:209], v[136:137], s[40:41]
	v_add_f64 v[48:49], v[202:203], v[48:49]
	v_add_f64 v[208:209], v[212:213], v[208:209]
	v_mul_f64 v[212:213], v[100:101], s[40:41]
	v_add_f64 v[42:43], v[208:209], v[42:43]
	v_add_f64 v[206:207], v[212:213], -v[206:207]
	v_mul_f64 v[212:213], v[134:135], s[36:37]
	v_add_f64 v[48:49], v[206:207], v[48:49]
	v_add_f64 v[212:213], v[216:217], v[212:213]
	v_mul_f64 v[216:217], v[96:97], s[36:37]
	v_add_f64 v[210:211], v[216:217], -v[210:211]
	v_mul_f64 v[216:217], v[86:87], s[22:23]
	v_add_f64 v[216:217], v[220:221], v[216:217]
	v_mul_f64 v[220:221], v[72:73], s[22:23]
	v_add_f64 v[38:39], v[216:217], v[38:39]
	v_add_f64 v[214:215], v[220:221], -v[214:215]
	v_mul_f64 v[220:221], v[94:95], s[30:31]
	v_add_f64 v[40:41], v[214:215], v[40:41]
	v_add_f64 v[220:221], v[224:225], v[220:221]
	v_mul_f64 v[224:225], v[76:77], s[30:31]
	v_add_f64 v[38:39], v[220:221], v[38:39]
	v_add_f64 v[218:219], v[224:225], -v[218:219]
	v_mul_f64 v[224:225], v[122:123], s[36:37]
	v_add_f64 v[40:41], v[218:219], v[40:41]
	;; [unrolled: 6-line block ×6, first 2 shown]
	v_add_f64 v[247:248], v[249:250], v[247:248]
	v_mul_f64 v[249:250], v[96:97], s[8:9]
	v_add_f64 v[232:233], v[249:250], -v[232:233]
	v_mul_f64 v[249:250], v[86:87], s[30:31]
	v_add_f64 v[249:250], v[251:252], v[249:250]
	v_mul_f64 v[251:252], v[72:73], s[30:31]
	v_add_f64 v[34:35], v[249:250], v[34:35]
	v_add_f64 v[234:235], v[251:252], -v[234:235]
	v_mul_f64 v[251:252], v[138:139], s[16:17]
	v_add_f64 v[36:37], v[234:235], v[36:37]
	v_add_f64 v[152:153], v[152:153], v[251:252]
	v_mul_f64 v[251:252], v[94:95], s[36:37]
	v_add_f64 v[144:145], v[144:145], v[251:252]
	v_mul_f64 v[251:252], v[76:77], s[36:37]
	v_add_f64 v[34:35], v[144:145], v[34:35]
	v_add_f64 v[240:241], v[251:252], -v[241:242]
	v_mul_f64 v[251:252], v[122:123], s[24:25]
	v_add_f64 v[36:37], v[240:241], v[36:37]
	v_add_f64 v[148:149], v[148:149], v[251:252]
	v_mul_f64 v[251:252], v[84:85], s[24:25]
	v_add_f64 v[34:35], v[148:149], v[34:35]
	v_add_f64 v[242:243], v[251:252], -v[243:244]
	v_mul_f64 v[251:252], v[92:93], s[16:17]
	v_add_f64 v[34:35], v[152:153], v[34:35]
	v_add_f64 v[36:37], v[242:243], v[36:37]
	v_add_f64 v[251:252], v[251:252], -v[253:254]
	v_mul_f64 v[253:254], v[132:133], s[8:9]
	v_add_f64 v[36:37], v[251:252], v[36:37]
	v_add_f64 v[150:151], v[150:151], v[253:254]
	v_mul_f64 v[253:254], v[98:99], s[8:9]
	v_add_f64 v[34:35], v[150:151], v[34:35]
	v_add_f64 v[140:141], v[253:254], -v[140:141]
	v_fma_f64 v[253:254], v[72:73], s[18:19], v[64:65]
	v_fma_f64 v[64:65], v[72:73], s[18:19], -v[64:65]
	v_add_f64 v[36:37], v[140:141], v[36:37]
	v_add_f64 v[52:53], v[253:254], v[52:53]
	;; [unrolled: 1-line block ×3, first 2 shown]
	v_fma_f64 v[64:65], v[76:77], s[22:23], v[62:63]
	v_add_f64 v[44:45], v[60:61], v[44:45]
	v_fma_f64 v[60:61], v[88:89], s[52:53], v[68:69]
	v_add_f64 v[52:53], v[64:65], v[52:53]
	v_add_f64 v[50:51], v[60:61], v[50:51]
	v_fma_f64 v[60:61], v[84:85], s[16:17], -v[70:71]
	v_add_f64 v[54:55], v[60:61], v[54:55]
	v_mul_f64 v[60:61], v[122:123], s[30:31]
	v_fma_f64 v[62:63], v[88:89], s[34:35], v[60:61]
	v_fma_f64 v[60:61], v[88:89], s[54:55], v[60:61]
	v_add_f64 v[58:59], v[62:63], v[58:59]
	v_mul_f64 v[62:63], v[90:91], s[54:55]
	v_add_f64 v[56:57], v[60:61], v[56:57]
	v_fma_f64 v[60:61], v[84:85], s[30:31], -v[62:63]
	v_fma_f64 v[64:65], v[84:85], s[30:31], v[62:63]
	v_add_f64 v[44:45], v[60:61], v[44:45]
	v_fma_f64 v[60:61], v[102:103], s[34:35], v[142:143]
	v_add_f64 v[52:53], v[64:65], v[52:53]
	v_add_f64 v[50:51], v[60:61], v[50:51]
	v_fma_f64 v[60:61], v[92:93], s[30:31], -v[146:147]
	v_add_f64 v[54:55], v[60:61], v[54:55]
	v_mul_f64 v[60:61], v[138:139], s[8:9]
	v_fma_f64 v[62:63], v[102:103], s[48:49], v[60:61]
	v_fma_f64 v[60:61], v[102:103], s[4:5], v[60:61]
	v_add_f64 v[58:59], v[62:63], v[58:59]
	v_mul_f64 v[62:63], v[120:121], s[4:5]
	v_add_f64 v[56:57], v[60:61], v[56:57]
	v_fma_f64 v[60:61], v[92:93], s[8:9], -v[62:63]
	;; [unrolled: 14-line block ×3, first 2 shown]
	v_fma_f64 v[64:65], v[98:99], s[36:37], v[62:63]
	v_add_f64 v[44:45], v[60:61], v[44:45]
	v_fma_f64 v[60:61], v[128:129], s[26:27], v[158:159]
	v_add_f64 v[52:53], v[64:65], v[52:53]
	v_add_f64 v[50:51], v[60:61], v[50:51]
	v_fma_f64 v[60:61], v[100:101], s[24:25], -v[160:161]
	v_add_f64 v[14:15], v[14:15], v[50:51]
	v_add_f64 v[54:55], v[60:61], v[54:55]
	v_mul_f64 v[60:61], v[136:137], s[16:17]
	v_fma_f64 v[62:63], v[128:129], s[10:11], v[60:61]
	v_fma_f64 v[60:61], v[128:129], s[52:53], v[60:61]
	v_add_f64 v[58:59], v[62:63], v[58:59]
	v_mul_f64 v[62:63], v[130:131], s[52:53]
	v_add_f64 v[56:57], v[60:61], v[56:57]
	v_fma_f64 v[64:65], v[100:101], s[16:17], v[62:63]
	v_fma_f64 v[60:61], v[100:101], s[16:17], -v[62:63]
	s_clause 0x1
	buffer_load_dword v62, off, s[60:63], 0 offset:168
	buffer_load_dword v63, off, s[60:63], 0 offset:172
	v_add_f64 v[52:53], v[64:65], v[52:53]
	s_clause 0x7
	buffer_load_dword v64, off, s[60:63], 0 offset:112
	buffer_load_dword v65, off, s[60:63], 0 offset:116
	;; [unrolled: 1-line block ×8, first 2 shown]
	v_add_f64 v[44:45], v[60:61], v[44:45]
	v_mul_f64 v[60:61], v[136:137], s[22:23]
	s_waitcnt vmcnt(8)
	v_add_f64 v[60:61], v[62:63], v[60:61]
	v_mul_f64 v[62:63], v[100:101], s[22:23]
	v_add_f64 v[34:35], v[60:61], v[34:35]
	s_waitcnt vmcnt(6)
	v_add_f64 v[62:63], v[62:63], -v[64:65]
	v_mul_f64 v[60:61], v[96:97], s[40:41]
	v_mul_f64 v[64:65], v[134:135], s[40:41]
	v_add_f64 v[36:37], v[62:63], v[36:37]
	v_mul_f64 v[62:63], v[86:87], s[36:37]
	s_waitcnt vmcnt(4)
	v_add_f64 v[60:61], v[60:61], -v[66:67]
	v_mul_f64 v[66:67], v[94:95], s[24:25]
	v_add_f64 v[64:65], v[174:175], v[64:65]
	v_add_f64 v[62:63], v[180:181], v[62:63]
	;; [unrolled: 1-line block ×5, first 2 shown]
	v_mul_f64 v[62:63], v[72:73], s[36:37]
	v_add_f64 v[30:31], v[66:67], v[30:31]
	v_mul_f64 v[66:67], v[76:77], s[24:25]
	s_waitcnt vmcnt(2)
	v_add_f64 v[62:63], v[62:63], -v[68:69]
	v_mul_f64 v[68:69], v[122:123], s[8:9]
	s_waitcnt vmcnt(0)
	v_add_f64 v[66:67], v[66:67], -v[70:71]
	s_clause 0x1
	buffer_load_dword v70, off, s[60:63], 0 offset:152
	buffer_load_dword v71, off, s[60:63], 0 offset:156
	v_add_f64 v[68:69], v[188:189], v[68:69]
	v_add_f64 v[32:33], v[62:63], v[32:33]
	v_mul_f64 v[62:63], v[138:139], s[18:19]
	v_add_f64 v[30:31], v[68:69], v[30:31]
	v_mul_f64 v[68:69], v[84:85], s[8:9]
	v_add_f64 v[32:33], v[66:67], v[32:33]
	v_mul_f64 v[66:67], v[92:93], s[18:19]
	v_add_f64 v[62:63], v[190:191], v[62:63]
	v_add_f64 v[66:67], v[66:67], -v[170:171]
	v_add_f64 v[30:31], v[62:63], v[30:31]
	v_mul_f64 v[62:63], v[98:99], s[40:41]
	v_add_f64 v[62:63], v[62:63], -v[172:173]
	s_waitcnt vmcnt(0)
	v_add_f64 v[68:69], v[68:69], -v[70:71]
	v_add_f64 v[32:33], v[68:69], v[32:33]
	v_mul_f64 v[68:69], v[132:133], s[40:41]
	v_add_f64 v[32:33], v[66:67], v[32:33]
	v_add_f64 v[68:69], v[182:183], v[68:69]
	v_mul_f64 v[66:67], v[136:137], s[30:31]
	v_add_f64 v[32:33], v[62:63], v[32:33]
	v_add_f64 v[30:31], v[68:69], v[30:31]
	;; [unrolled: 1-line block ×3, first 2 shown]
	v_mul_f64 v[68:69], v[100:101], s[30:31]
	v_mul_f64 v[62:63], v[134:135], s[16:17]
	v_add_f64 v[66:67], v[66:67], v[30:31]
	v_mul_f64 v[30:31], v[96:97], s[16:17]
	v_add_f64 v[68:69], v[68:69], -v[176:177]
	v_add_f64 v[62:63], v[192:193], v[62:63]
	v_add_f64 v[70:71], v[30:31], -v[178:179]
	v_mul_f64 v[30:31], v[86:87], s[40:41]
	v_mul_f64 v[86:87], v[86:87], s[24:25]
	v_add_f64 v[68:69], v[68:69], v[32:33]
	v_fma_f64 v[140:141], v[74:75], s[46:47], v[30:31]
	v_fma_f64 v[30:31], v[74:75], s[42:43], v[30:31]
	v_add_f64 v[26:27], v[140:141], v[26:27]
	v_mul_f64 v[140:141], v[94:95], s[16:17]
	v_mul_f64 v[94:95], v[94:95], s[8:9]
	v_add_f64 v[16:17], v[30:31], v[16:17]
	v_fma_f64 v[142:143], v[82:83], s[52:53], v[140:141]
	v_fma_f64 v[30:31], v[82:83], s[10:11], v[140:141]
	v_add_f64 v[26:27], v[142:143], v[26:27]
	;; [unrolled: 6-line block ×3, first 2 shown]
	v_mul_f64 v[144:145], v[78:79], s[46:47]
	v_mul_f64 v[78:79], v[78:79], s[28:29]
	v_add_f64 v[16:17], v[30:31], v[16:17]
	v_fma_f64 v[146:147], v[72:73], s[40:41], -v[144:145]
	v_add_f64 v[28:29], v[146:147], v[28:29]
	v_mul_f64 v[146:147], v[80:81], s[52:53]
	v_mul_f64 v[80:81], v[80:81], s[4:5]
	v_fma_f64 v[148:149], v[76:77], s[16:17], -v[146:147]
	v_add_f64 v[28:29], v[148:149], v[28:29]
	v_mul_f64 v[148:149], v[90:91], s[6:7]
	v_mul_f64 v[90:91], v[90:91], s[42:43]
	;; [unrolled: 4-line block ×3, first 2 shown]
	v_fma_f64 v[152:153], v[102:103], s[38:39], v[150:151]
	v_fma_f64 v[30:31], v[102:103], s[50:51], v[150:151]
	v_add_f64 v[26:27], v[152:153], v[26:27]
	v_mul_f64 v[152:153], v[120:121], s[38:39]
	v_mul_f64 v[120:121], v[120:121], s[56:57]
	v_add_f64 v[16:17], v[30:31], v[16:17]
	v_fma_f64 v[154:155], v[92:93], s[36:37], -v[152:153]
	v_add_f64 v[28:29], v[154:155], v[28:29]
	v_mul_f64 v[154:155], v[132:133], s[22:23]
	v_fma_f64 v[156:157], v[124:125], s[56:57], v[154:155]
	v_add_f64 v[26:27], v[156:157], v[26:27]
	v_mul_f64 v[156:157], v[104:105], s[56:57]
	v_fma_f64 v[158:159], v[98:99], s[22:23], -v[156:157]
	v_add_f64 v[28:29], v[158:159], v[28:29]
	v_fma_f64 v[158:159], v[74:75], s[28:29], v[86:87]
	v_fma_f64 v[86:87], v[74:75], s[26:27], v[86:87]
	;; [unrolled: 1-line block ×3, first 2 shown]
	v_add_f64 v[24:25], v[158:159], v[24:25]
	v_fma_f64 v[158:159], v[82:83], s[4:5], v[94:95]
	v_add_f64 v[22:23], v[86:87], v[22:23]
	v_mul_f64 v[86:87], v[136:137], s[36:37]
	v_add_f64 v[24:25], v[158:159], v[24:25]
	v_fma_f64 v[158:159], v[88:89], s[42:43], v[122:123]
	v_add_f64 v[24:25], v[158:159], v[24:25]
	v_fma_f64 v[158:159], v[102:103], s[56:57], v[138:139]
	v_add_f64 v[24:25], v[158:159], v[24:25]
	v_fma_f64 v[158:159], v[72:73], s[24:25], -v[78:79]
	v_fma_f64 v[78:79], v[72:73], s[24:25], v[78:79]
	v_fma_f64 v[72:73], v[72:73], s[40:41], v[144:145]
	v_add_f64 v[46:47], v[158:159], v[46:47]
	v_add_f64 v[20:21], v[78:79], v[20:21]
	v_fma_f64 v[78:79], v[82:83], s[48:49], v[94:95]
	v_fma_f64 v[158:159], v[76:77], s[8:9], -v[80:81]
	v_add_f64 v[12:13], v[72:73], v[12:13]
	v_fma_f64 v[72:73], v[76:77], s[16:17], v[146:147]
	v_mul_f64 v[76:77], v[104:105], s[10:11]
	v_fma_f64 v[82:83], v[98:99], s[22:23], v[156:157]
	v_mul_f64 v[94:95], v[134:135], s[18:19]
	v_add_f64 v[20:21], v[74:75], v[20:21]
	v_fma_f64 v[74:75], v[84:85], s[40:41], v[90:91]
	v_add_f64 v[22:23], v[78:79], v[22:23]
	v_fma_f64 v[78:79], v[88:89], s[46:47], v[122:123]
	v_add_f64 v[46:47], v[158:159], v[46:47]
	v_fma_f64 v[158:159], v[84:85], s[40:41], -v[90:91]
	v_add_f64 v[12:13], v[72:73], v[12:13]
	v_fma_f64 v[72:73], v[84:85], s[18:19], v[148:149]
	v_fma_f64 v[80:81], v[98:99], s[16:17], -v[76:77]
	v_fma_f64 v[76:77], v[98:99], s[16:17], v[76:77]
	v_mul_f64 v[84:85], v[130:131], s[4:5]
	v_mul_f64 v[88:89], v[130:131], s[38:39]
	;; [unrolled: 1-line block ×4, first 2 shown]
	v_add_f64 v[20:21], v[74:75], v[20:21]
	v_fma_f64 v[74:75], v[92:93], s[22:23], v[120:121]
	v_add_f64 v[22:23], v[78:79], v[22:23]
	v_fma_f64 v[78:79], v[102:103], s[20:21], v[138:139]
	v_add_f64 v[46:47], v[158:159], v[46:47]
	v_fma_f64 v[158:159], v[92:93], s[22:23], -v[120:121]
	v_add_f64 v[12:13], v[72:73], v[12:13]
	v_fma_f64 v[72:73], v[92:93], s[36:37], v[152:153]
	v_mul_f64 v[92:93], v[126:127], s[34:35]
	v_fma_f64 v[104:105], v[96:97], s[18:19], -v[98:99]
	v_fma_f64 v[98:99], v[96:97], s[18:19], v[98:99]
	v_add_f64 v[20:21], v[74:75], v[20:21]
	v_mul_f64 v[74:75], v[132:133], s[16:17]
	v_add_f64 v[22:23], v[78:79], v[22:23]
	v_fma_f64 v[78:79], v[124:125], s[20:21], v[154:155]
	v_add_f64 v[46:47], v[158:159], v[46:47]
	v_add_f64 v[12:13], v[72:73], v[12:13]
	v_mul_f64 v[72:73], v[136:137], s[8:9]
	v_fma_f64 v[102:103], v[96:97], s[30:31], -v[92:93]
	v_fma_f64 v[92:93], v[96:97], s[30:31], v[92:93]
	v_add_f64 v[20:21], v[76:77], v[20:21]
	v_fma_f64 v[30:31], v[124:125], s[10:11], v[74:75]
	v_fma_f64 v[74:75], v[124:125], s[52:53], v[74:75]
	v_add_f64 v[16:17], v[78:79], v[16:17]
	v_fma_f64 v[78:79], v[128:129], s[38:39], v[86:87]
	v_fma_f64 v[86:87], v[128:129], s[50:51], v[86:87]
	v_add_f64 v[46:47], v[80:81], v[46:47]
	v_mul_f64 v[80:81], v[126:127], s[26:27]
	v_fma_f64 v[76:77], v[100:101], s[8:9], -v[84:85]
	v_add_f64 v[12:13], v[82:83], v[12:13]
	v_fma_f64 v[82:83], v[100:101], s[36:37], -v[88:89]
	v_fma_f64 v[88:89], v[100:101], s[36:37], v[88:89]
	v_fma_f64 v[84:85], v[100:101], s[8:9], v[84:85]
	;; [unrolled: 1-line block ×4, first 2 shown]
	v_add_f64 v[24:25], v[30:31], v[24:25]
	v_mul_f64 v[30:31], v[134:135], s[24:25]
	v_add_f64 v[22:23], v[74:75], v[22:23]
	v_fma_f64 v[74:75], v[128:129], s[4:5], v[72:73]
	v_fma_f64 v[72:73], v[128:129], s[48:49], v[72:73]
	v_add_f64 v[76:77], v[76:77], v[28:29]
	v_add_f64 v[28:29], v[232:233], v[40:41]
	;; [unrolled: 1-line block ×3, first 2 shown]
	v_fma_f64 v[46:47], v[106:107], s[44:45], v[94:95]
	v_add_f64 v[88:89], v[88:89], v[20:21]
	v_fma_f64 v[94:95], v[106:107], s[6:7], v[94:95]
	v_add_f64 v[84:85], v[84:85], v[12:13]
	v_add_f64 v[12:13], v[18:19], v[54:55]
	;; [unrolled: 1-line block ×3, first 2 shown]
	v_fma_f64 v[32:33], v[106:107], s[28:29], v[30:31]
	v_fma_f64 v[30:31], v[106:107], s[26:27], v[30:31]
	v_add_f64 v[86:87], v[86:87], v[22:23]
	v_add_f64 v[74:75], v[74:75], v[26:27]
	v_fma_f64 v[26:27], v[96:97], s[24:25], v[80:81]
	v_fma_f64 v[80:81], v[96:97], s[24:25], -v[80:81]
	v_add_f64 v[72:73], v[72:73], v[16:17]
	v_add_f64 v[24:25], v[210:211], v[48:49]
	;; [unrolled: 1-line block ×7, first 2 shown]
	buffer_load_dword v56, off, s[60:63], 0 ; 4-byte Folded Reload
	v_add_f64 v[30:31], v[247:248], v[38:39]
	v_add_f64 v[16:17], v[26:27], v[52:53]
	v_add_f64 v[26:27], v[212:213], v[42:43]
	v_add_f64 v[32:33], v[60:61], v[36:37]
	v_add_f64 v[38:39], v[62:63], v[66:67]
	v_add_f64 v[36:37], v[70:71], v[68:69]
	v_add_f64 v[42:43], v[100:101], v[74:75]
	v_add_f64 v[20:21], v[80:81], v[44:45]
	v_add_f64 v[44:45], v[104:105], v[82:83]
	v_add_f64 v[50:51], v[94:95], v[86:87]
	v_add_f64 v[54:55], v[90:91], v[72:73]
	v_add_f64 v[52:53], v[92:93], v[84:85]
	v_mov_b32_e32 v57, 4
	s_waitcnt vmcnt(0)
	v_mul_lo_u16 v56, v56, 17
	v_lshlrev_b32_sdwa v56, v57, v56 dst_sel:DWORD dst_unused:UNUSED_PAD src0_sel:DWORD src1_sel:WORD_0
	ds_write_b128 v56, v[8:11]
	ds_write_b128 v56, v[24:27] offset:16
	ds_write_b128 v56, v[28:31] offset:32
	;; [unrolled: 1-line block ×16, first 2 shown]
.LBB0_7:
	s_or_b32 exec_lo, exec_lo, s33
	buffer_load_dword v224, off, s[60:63], 0 ; 4-byte Folded Reload
	s_load_dwordx4 s[4:7], s[0:1], 0x0
	s_waitcnt vmcnt(0) lgkmcnt(0)
	s_barrier
	buffer_gl0_inv
	s_mov_b32 s28, 0x42a4c3d2
	s_mov_b32 s30, 0x66966769
	;; [unrolled: 1-line block ×30, first 2 shown]
	v_and_b32_e32 v4, 0xff, v224
	v_mul_lo_u16 v4, 0xf1, v4
	v_lshrrev_b16 v205, 12, v4
	v_mul_lo_u16 v4, v205, 17
	v_sub_nc_u16 v4, v224, v4
	v_and_b32_e32 v204, 0xff, v4
	v_mul_u32_u24_e32 v4, 12, v204
	v_lshlrev_b32_e32 v104, 4, v4
	s_clause 0x7
	global_load_dwordx4 v[88:91], v104, s[2:3]
	global_load_dwordx4 v[84:87], v104, s[2:3] offset:16
	global_load_dwordx4 v[80:83], v104, s[2:3] offset:32
	;; [unrolled: 1-line block ×7, first 2 shown]
	ds_read_b128 v[4:7], v255 offset:2176
	ds_read_b128 v[8:11], v255 offset:4352
	;; [unrolled: 1-line block ×3, first 2 shown]
	s_clause 0x2
	global_load_dwordx4 v[92:95], v104, s[2:3] offset:128
	global_load_dwordx4 v[96:99], v104, s[2:3] offset:144
	;; [unrolled: 1-line block ×3, first 2 shown]
	ds_read_b128 v[16:19], v255 offset:8704
	ds_read_b128 v[150:153], v255
	ds_read_b128 v[20:23], v255 offset:10880
	global_load_dwordx4 v[104:107], v104, s[2:3] offset:176
	s_waitcnt vmcnt(11) lgkmcnt(5)
	v_mul_f64 v[24:25], v[6:7], v[90:91]
	s_waitcnt vmcnt(10) lgkmcnt(4)
	v_mul_f64 v[28:29], v[10:11], v[86:87]
	v_mul_f64 v[30:31], v[8:9], v[86:87]
	;; [unrolled: 1-line block ×3, first 2 shown]
	s_waitcnt vmcnt(9) lgkmcnt(3)
	v_mul_f64 v[32:33], v[14:15], v[82:83]
	v_mul_f64 v[34:35], v[12:13], v[82:83]
	v_fma_f64 v[4:5], v[4:5], v[88:89], -v[24:25]
	v_fma_f64 v[36:37], v[8:9], v[84:85], -v[28:29]
	v_fma_f64 v[38:39], v[10:11], v[84:85], v[30:31]
	s_waitcnt vmcnt(8) lgkmcnt(2)
	v_mul_f64 v[8:9], v[18:19], v[78:79]
	v_mul_f64 v[10:11], v[16:17], v[78:79]
	v_fma_f64 v[6:7], v[6:7], v[88:89], v[26:27]
	ds_read_b128 v[24:27], v255 offset:13056
	v_fma_f64 v[44:45], v[12:13], v[80:81], -v[32:33]
	v_fma_f64 v[46:47], v[14:15], v[80:81], v[34:35]
	s_waitcnt vmcnt(7) lgkmcnt(1)
	v_mul_f64 v[12:13], v[22:23], v[74:75]
	v_mul_f64 v[14:15], v[20:21], v[74:75]
	v_add_f64 v[144:145], v[150:151], v[4:5]
	v_fma_f64 v[48:49], v[16:17], v[76:77], -v[8:9]
	v_fma_f64 v[50:51], v[18:19], v[76:77], v[10:11]
	ds_read_b128 v[8:11], v255 offset:15232
	s_waitcnt vmcnt(6) lgkmcnt(1)
	v_mul_f64 v[16:17], v[26:27], v[70:71]
	v_mul_f64 v[18:19], v[24:25], v[70:71]
	v_add_f64 v[146:147], v[152:153], v[6:7]
	v_fma_f64 v[52:53], v[20:21], v[72:73], -v[12:13]
	v_fma_f64 v[54:55], v[22:23], v[72:73], v[14:15]
	s_waitcnt vmcnt(5) lgkmcnt(0)
	v_mul_f64 v[12:13], v[10:11], v[66:67]
	v_mul_f64 v[14:15], v[8:9], v[66:67]
	v_fma_f64 v[56:57], v[24:25], v[68:69], -v[16:17]
	v_fma_f64 v[58:59], v[26:27], v[68:69], v[18:19]
	v_fma_f64 v[40:41], v[8:9], v[64:65], -v[12:13]
	v_fma_f64 v[42:43], v[10:11], v[64:65], v[14:15]
	ds_read_b128 v[8:11], v255 offset:17408
	s_waitcnt vmcnt(4) lgkmcnt(0)
	v_mul_f64 v[12:13], v[10:11], v[62:63]
	v_add_f64 v[212:213], v[56:57], v[40:41]
	v_add_f64 v[218:219], v[58:59], v[42:43]
	v_fma_f64 v[32:33], v[8:9], v[60:61], -v[12:13]
	v_mul_f64 v[8:9], v[8:9], v[62:63]
	v_add_f64 v[202:203], v[52:53], -v[32:33]
	v_fma_f64 v[34:35], v[10:11], v[60:61], v[8:9]
	ds_read_b128 v[8:11], v255 offset:19584
	s_waitcnt vmcnt(3) lgkmcnt(0)
	v_mul_f64 v[12:13], v[10:11], v[94:95]
	v_add_f64 v[200:201], v[54:55], -v[34:35]
	v_mul_f64 v[208:209], v[202:203], s[24:25]
	v_fma_f64 v[28:29], v[8:9], v[92:93], -v[12:13]
	v_mul_f64 v[8:9], v[8:9], v[94:95]
	v_mul_f64 v[206:207], v[200:201], s[24:25]
	v_add_f64 v[182:183], v[48:49], -v[28:29]
	v_fma_f64 v[30:31], v[10:11], v[92:93], v[8:9]
	ds_read_b128 v[8:11], v255 offset:21760
	s_waitcnt vmcnt(2) lgkmcnt(0)
	v_mul_f64 v[12:13], v[10:11], v[98:99]
	v_add_f64 v[180:181], v[50:51], -v[30:31]
	v_mul_f64 v[198:199], v[182:183], s[20:21]
	v_fma_f64 v[24:25], v[8:9], v[96:97], -v[12:13]
	v_mul_f64 v[8:9], v[8:9], v[98:99]
	v_mul_f64 v[196:197], v[180:181], s[20:21]
	v_fma_f64 v[26:27], v[10:11], v[96:97], v[8:9]
	ds_read_b128 v[8:11], v255 offset:23936
	s_waitcnt vmcnt(1) lgkmcnt(0)
	v_mul_f64 v[12:13], v[10:11], v[102:103]
	v_fma_f64 v[20:21], v[8:9], v[100:101], -v[12:13]
	v_mul_f64 v[8:9], v[8:9], v[102:103]
	v_fma_f64 v[22:23], v[10:11], v[100:101], v[8:9]
	ds_read_b128 v[8:11], v255 offset:26112
	s_waitcnt vmcnt(0) lgkmcnt(0)
	s_barrier
	buffer_gl0_inv
	v_mul_f64 v[12:13], v[10:11], v[106:107]
	v_fma_f64 v[140:141], v[8:9], v[104:105], -v[12:13]
	v_mul_f64 v[8:9], v[8:9], v[106:107]
	v_add_f64 v[120:121], v[4:5], v[140:141]
	v_fma_f64 v[142:143], v[10:11], v[104:105], v[8:9]
	v_add_f64 v[8:9], v[6:7], -v[142:143]
	v_add_f64 v[136:137], v[6:7], v[142:143]
	v_mul_f64 v[10:11], v[8:9], s[22:23]
	v_mul_f64 v[12:13], v[8:9], s[28:29]
	;; [unrolled: 1-line block ×6, first 2 shown]
	v_fma_f64 v[122:123], v[120:121], s[16:17], -v[10:11]
	v_fma_f64 v[10:11], v[120:121], s[16:17], v[10:11]
	v_fma_f64 v[128:129], v[120:121], s[0:1], -v[14:15]
	v_fma_f64 v[130:131], v[120:121], s[0:1], v[14:15]
	v_fma_f64 v[132:133], v[120:121], s[8:9], -v[16:17]
	v_fma_f64 v[156:157], v[120:121], s[26:27], -v[8:9]
	v_fma_f64 v[160:161], v[120:121], s[26:27], v[8:9]
	v_add_f64 v[8:9], v[4:5], -v[140:141]
	v_fma_f64 v[134:135], v[120:121], s[8:9], v[16:17]
	v_fma_f64 v[148:149], v[120:121], s[18:19], -v[18:19]
	v_fma_f64 v[154:155], v[120:121], s[18:19], v[18:19]
	v_fma_f64 v[124:125], v[120:121], s[10:11], -v[12:13]
	v_fma_f64 v[12:13], v[120:121], s[10:11], v[12:13]
	v_add_f64 v[4:5], v[150:151], v[122:123]
	v_add_f64 v[122:123], v[150:151], v[10:11]
	;; [unrolled: 1-line block ×3, first 2 shown]
	v_mul_f64 v[14:15], v[8:9], s[22:23]
	v_mul_f64 v[16:17], v[8:9], s[28:29]
	;; [unrolled: 1-line block ×6, first 2 shown]
	v_add_f64 v[10:11], v[150:151], v[124:125]
	v_add_f64 v[168:169], v[150:151], v[148:149]
	s_mov_b32 s23, 0x3fddbe06
	v_fma_f64 v[138:139], v[136:137], s[16:17], v[14:15]
	v_fma_f64 v[14:15], v[136:137], s[16:17], -v[14:15]
	v_fma_f64 v[158:159], v[136:137], s[10:11], v[16:17]
	v_fma_f64 v[162:163], v[136:137], s[0:1], v[18:19]
	v_fma_f64 v[18:19], v[136:137], s[0:1], -v[18:19]
	v_fma_f64 v[16:17], v[136:137], s[10:11], -v[16:17]
	v_fma_f64 v[164:165], v[136:137], s[8:9], v[120:121]
	v_fma_f64 v[166:167], v[136:137], s[8:9], -v[120:121]
	v_fma_f64 v[170:171], v[136:137], s[18:19], v[126:127]
	;; [unrolled: 2-line block ×3, first 2 shown]
	v_fma_f64 v[176:177], v[136:137], s[26:27], -v[8:9]
	v_add_f64 v[126:127], v[150:151], v[12:13]
	v_add_f64 v[6:7], v[152:153], v[138:139]
	;; [unrolled: 1-line block ×11, first 2 shown]
	v_add_f64 v[160:161], v[38:39], -v[22:23]
	v_add_f64 v[124:125], v[152:153], v[16:17]
	v_add_f64 v[12:13], v[152:153], v[162:163]
	;; [unrolled: 1-line block ×9, first 2 shown]
	v_add_f64 v[162:163], v[36:37], -v[20:21]
	v_add_f64 v[172:173], v[46:47], -v[26:27]
	;; [unrolled: 1-line block ×3, first 2 shown]
	v_add_f64 v[36:37], v[144:145], v[36:37]
	v_mul_f64 v[184:185], v[160:161], s[28:29]
	v_mul_f64 v[186:187], v[162:163], s[28:29]
	;; [unrolled: 1-line block ×4, first 2 shown]
	v_add_f64 v[36:37], v[36:37], v[44:45]
	v_fma_f64 v[154:155], v[152:153], s[10:11], -v[184:185]
	v_fma_f64 v[184:185], v[152:153], s[10:11], v[184:185]
	v_add_f64 v[36:37], v[36:37], v[48:49]
	v_add_f64 v[4:5], v[154:155], v[4:5]
	;; [unrolled: 1-line block ×6, first 2 shown]
	v_fma_f64 v[164:165], v[154:155], s[10:11], v[186:187]
	v_fma_f64 v[184:185], v[154:155], s[10:11], -v[186:187]
	v_add_f64 v[38:39], v[38:39], v[46:47]
	v_add_f64 v[36:37], v[36:37], v[56:57]
	;; [unrolled: 1-line block ×7, first 2 shown]
	v_fma_f64 v[170:171], v[164:165], s[0:1], -v[188:189]
	v_fma_f64 v[184:185], v[164:165], s[0:1], v[188:189]
	v_add_f64 v[38:39], v[38:39], v[54:55]
	v_add_f64 v[4:5], v[170:171], v[4:5]
	;; [unrolled: 1-line block ×5, first 2 shown]
	v_fma_f64 v[176:177], v[170:171], s[0:1], v[190:191]
	v_fma_f64 v[184:185], v[170:171], s[0:1], -v[190:191]
	v_add_f64 v[38:39], v[38:39], v[42:43]
	v_add_f64 v[6:7], v[176:177], v[6:7]
	;; [unrolled: 1-line block ×4, first 2 shown]
	v_fma_f64 v[178:179], v[176:177], s[8:9], -v[196:197]
	v_fma_f64 v[184:185], v[176:177], s[8:9], v[196:197]
	v_add_f64 v[4:5], v[178:179], v[4:5]
	v_add_f64 v[178:179], v[50:51], v[30:31]
	;; [unrolled: 1-line block ×3, first 2 shown]
	v_fma_f64 v[192:193], v[178:179], s[8:9], v[198:199]
	v_fma_f64 v[184:185], v[178:179], s[8:9], -v[198:199]
	v_add_f64 v[6:7], v[192:193], v[6:7]
	v_add_f64 v[192:193], v[52:53], v[32:33]
	;; [unrolled: 1-line block ×4, first 2 shown]
	v_fma_f64 v[194:195], v[192:193], s[18:19], -v[206:207]
	v_fma_f64 v[184:185], v[192:193], s[18:19], v[206:207]
	v_add_f64 v[28:29], v[32:33], v[28:29]
	v_add_f64 v[4:5], v[194:195], v[4:5]
	;; [unrolled: 1-line block ×6, first 2 shown]
	v_fma_f64 v[210:211], v[194:195], s[18:19], v[208:209]
	v_fma_f64 v[184:185], v[194:195], s[18:19], -v[208:209]
	v_add_f64 v[30:31], v[34:35], v[30:31]
	v_add_f64 v[20:21], v[24:25], v[20:21]
	v_mov_b32_e32 v24, 0xdd
	v_mul_u32_u24_sdwa v24, v205, v24 dst_sel:DWORD dst_unused:UNUSED_PAD src0_sel:WORD_0 src1_sel:DWORD
	v_add_lshl_u32 v236, v24, v204, 4
	v_add_f64 v[6:7], v[210:211], v[6:7]
	v_add_f64 v[210:211], v[58:59], -v[42:43]
	v_add_f64 v[184:185], v[184:185], v[120:121]
	v_add_f64 v[26:27], v[30:31], v[26:27]
	;; [unrolled: 1-line block ×3, first 2 shown]
	v_mul_f64 v[214:215], v[210:211], s[34:35]
	v_add_f64 v[22:23], v[26:27], v[22:23]
	v_fma_f64 v[216:217], v[212:213], s[26:27], -v[214:215]
	v_fma_f64 v[120:121], v[212:213], s[26:27], v[214:215]
	v_add_f64 v[22:23], v[22:23], v[142:143]
	v_add_f64 v[4:5], v[216:217], v[4:5]
	v_add_f64 v[216:217], v[56:57], -v[40:41]
	v_add_f64 v[120:121], v[120:121], v[122:123]
	v_mul_f64 v[220:221], v[216:217], s[34:35]
	v_fma_f64 v[186:187], v[218:219], s[26:27], -v[220:221]
	v_fma_f64 v[222:223], v[218:219], s[26:27], v[220:221]
	v_mul_f64 v[220:221], v[210:211], s[22:23]
	v_add_f64 v[122:123], v[186:187], v[184:185]
	v_mul_f64 v[184:185], v[160:161], s[20:21]
	v_add_f64 v[6:7], v[222:223], v[6:7]
	v_mul_f64 v[222:223], v[216:217], s[22:23]
	v_fma_f64 v[186:187], v[152:153], s[8:9], -v[184:185]
	v_fma_f64 v[184:185], v[152:153], s[8:9], v[184:185]
	v_add_f64 v[10:11], v[186:187], v[10:11]
	v_mul_f64 v[186:187], v[162:163], s[20:21]
	v_add_f64 v[126:127], v[184:185], v[126:127]
	v_fma_f64 v[188:189], v[154:155], s[8:9], v[186:187]
	v_fma_f64 v[184:185], v[154:155], s[8:9], -v[186:187]
	v_fma_f64 v[186:187], v[218:219], s[16:17], -v[222:223]
	v_add_f64 v[8:9], v[188:189], v[8:9]
	v_mul_f64 v[188:189], v[172:173], s[34:35]
	v_add_f64 v[124:125], v[184:185], v[124:125]
	v_fma_f64 v[190:191], v[164:165], s[26:27], -v[188:189]
	v_fma_f64 v[184:185], v[164:165], s[26:27], v[188:189]
	v_add_f64 v[10:11], v[190:191], v[10:11]
	v_mul_f64 v[190:191], v[174:175], s[34:35]
	v_add_f64 v[126:127], v[184:185], v[126:127]
	v_fma_f64 v[196:197], v[170:171], s[26:27], v[190:191]
	v_fma_f64 v[184:185], v[170:171], s[26:27], -v[190:191]
	v_add_f64 v[8:9], v[196:197], v[8:9]
	v_mul_f64 v[196:197], v[180:181], s[38:39]
	v_add_f64 v[124:125], v[184:185], v[124:125]
	v_fma_f64 v[198:199], v[176:177], s[18:19], -v[196:197]
	v_fma_f64 v[184:185], v[176:177], s[18:19], v[196:197]
	v_add_f64 v[10:11], v[198:199], v[10:11]
	v_mul_f64 v[198:199], v[182:183], s[38:39]
	v_add_f64 v[126:127], v[184:185], v[126:127]
	v_fma_f64 v[206:207], v[178:179], s[18:19], v[198:199]
	v_fma_f64 v[184:185], v[178:179], s[18:19], -v[198:199]
	v_add_f64 v[8:9], v[206:207], v[8:9]
	v_mul_f64 v[206:207], v[200:201], s[36:37]
	v_add_f64 v[124:125], v[184:185], v[124:125]
	v_fma_f64 v[208:209], v[192:193], s[0:1], -v[206:207]
	v_fma_f64 v[184:185], v[192:193], s[0:1], v[206:207]
	v_add_f64 v[10:11], v[208:209], v[10:11]
	v_mul_f64 v[208:209], v[202:203], s[36:37]
	v_add_f64 v[126:127], v[184:185], v[126:127]
	v_fma_f64 v[184:185], v[194:195], s[0:1], -v[208:209]
	v_fma_f64 v[214:215], v[194:195], s[0:1], v[208:209]
	v_add_f64 v[184:185], v[184:185], v[124:125]
	v_fma_f64 v[124:125], v[212:213], s[16:17], v[220:221]
	v_add_f64 v[214:215], v[214:215], v[8:9]
	v_fma_f64 v[8:9], v[212:213], s[16:17], -v[220:221]
	v_mul_f64 v[220:221], v[210:211], s[24:25]
	v_add_f64 v[124:125], v[124:125], v[126:127]
	v_add_f64 v[126:127], v[186:187], v[184:185]
	v_mul_f64 v[184:185], v[160:161], s[34:35]
	v_add_f64 v[8:9], v[8:9], v[10:11]
	v_fma_f64 v[10:11], v[218:219], s[16:17], v[222:223]
	v_mul_f64 v[222:223], v[216:217], s[24:25]
	v_fma_f64 v[186:187], v[152:153], s[26:27], -v[184:185]
	v_fma_f64 v[184:185], v[152:153], s[26:27], v[184:185]
	v_add_f64 v[10:11], v[10:11], v[214:215]
	v_add_f64 v[14:15], v[186:187], v[14:15]
	v_mul_f64 v[186:187], v[162:163], s[34:35]
	v_add_f64 v[130:131], v[184:185], v[130:131]
	s_mov_b32 s35, 0x3fcea1e5
	v_fma_f64 v[188:189], v[154:155], s[26:27], v[186:187]
	v_fma_f64 v[184:185], v[154:155], s[26:27], -v[186:187]
	v_fma_f64 v[186:187], v[218:219], s[18:19], -v[222:223]
	v_add_f64 v[12:13], v[188:189], v[12:13]
	v_mul_f64 v[188:189], v[172:173], s[40:41]
	v_add_f64 v[128:129], v[184:185], v[128:129]
	v_fma_f64 v[190:191], v[164:165], s[8:9], -v[188:189]
	v_fma_f64 v[184:185], v[164:165], s[8:9], v[188:189]
	v_add_f64 v[14:15], v[190:191], v[14:15]
	v_mul_f64 v[190:191], v[174:175], s[40:41]
	v_add_f64 v[130:131], v[184:185], v[130:131]
	v_fma_f64 v[196:197], v[170:171], s[8:9], v[190:191]
	v_fma_f64 v[184:185], v[170:171], s[8:9], -v[190:191]
	v_add_f64 v[12:13], v[196:197], v[12:13]
	v_mul_f64 v[196:197], v[180:181], s[22:23]
	v_add_f64 v[128:129], v[184:185], v[128:129]
	v_fma_f64 v[198:199], v[176:177], s[16:17], -v[196:197]
	v_fma_f64 v[184:185], v[176:177], s[16:17], v[196:197]
	v_add_f64 v[14:15], v[198:199], v[14:15]
	v_mul_f64 v[198:199], v[182:183], s[22:23]
	v_add_f64 v[130:131], v[184:185], v[130:131]
	v_fma_f64 v[206:207], v[178:179], s[16:17], v[198:199]
	v_fma_f64 v[184:185], v[178:179], s[16:17], -v[198:199]
	v_add_f64 v[12:13], v[206:207], v[12:13]
	v_mul_f64 v[206:207], v[200:201], s[28:29]
	v_add_f64 v[128:129], v[184:185], v[128:129]
	v_fma_f64 v[208:209], v[192:193], s[10:11], -v[206:207]
	v_fma_f64 v[184:185], v[192:193], s[10:11], v[206:207]
	v_add_f64 v[14:15], v[208:209], v[14:15]
	v_mul_f64 v[208:209], v[202:203], s[28:29]
	v_add_f64 v[130:131], v[184:185], v[130:131]
	v_fma_f64 v[184:185], v[194:195], s[10:11], -v[208:209]
	v_fma_f64 v[214:215], v[194:195], s[10:11], v[208:209]
	v_add_f64 v[184:185], v[184:185], v[128:129]
	v_fma_f64 v[128:129], v[212:213], s[18:19], v[220:221]
	v_add_f64 v[214:215], v[214:215], v[12:13]
	v_fma_f64 v[12:13], v[212:213], s[18:19], -v[220:221]
	v_add_f64 v[128:129], v[128:129], v[130:131]
	v_add_f64 v[130:131], v[186:187], v[184:185]
	v_mul_f64 v[184:185], v[160:161], s[38:39]
	v_add_f64 v[12:13], v[12:13], v[14:15]
	v_fma_f64 v[14:15], v[218:219], s[18:19], v[222:223]
	v_fma_f64 v[186:187], v[152:153], s[18:19], -v[184:185]
	v_fma_f64 v[184:185], v[152:153], s[18:19], v[184:185]
	v_add_f64 v[14:15], v[14:15], v[214:215]
	v_add_f64 v[18:19], v[186:187], v[18:19]
	v_mul_f64 v[186:187], v[162:163], s[38:39]
	v_add_f64 v[138:139], v[184:185], v[138:139]
	v_fma_f64 v[188:189], v[154:155], s[18:19], v[186:187]
	v_fma_f64 v[184:185], v[154:155], s[18:19], -v[186:187]
	v_add_f64 v[16:17], v[188:189], v[16:17]
	v_mul_f64 v[188:189], v[172:173], s[22:23]
	v_add_f64 v[136:137], v[184:185], v[136:137]
	v_fma_f64 v[190:191], v[164:165], s[16:17], -v[188:189]
	v_fma_f64 v[184:185], v[164:165], s[16:17], v[188:189]
	v_add_f64 v[18:19], v[190:191], v[18:19]
	v_mul_f64 v[190:191], v[174:175], s[22:23]
	v_add_f64 v[138:139], v[184:185], v[138:139]
	v_fma_f64 v[196:197], v[170:171], s[16:17], v[190:191]
	v_fma_f64 v[184:185], v[170:171], s[16:17], -v[190:191]
	v_add_f64 v[16:17], v[196:197], v[16:17]
	v_mul_f64 v[196:197], v[180:181], s[30:31]
	v_add_f64 v[136:137], v[184:185], v[136:137]
	v_fma_f64 v[198:199], v[176:177], s[0:1], -v[196:197]
	v_fma_f64 v[184:185], v[176:177], s[0:1], v[196:197]
	v_add_f64 v[18:19], v[198:199], v[18:19]
	v_mul_f64 v[198:199], v[182:183], s[30:31]
	v_add_f64 v[138:139], v[184:185], v[138:139]
	s_mov_b32 s31, 0x3fea55e2
	s_mov_b32 s30, s28
	v_mul_f64 v[220:221], v[210:211], s[30:31]
	v_mul_f64 v[222:223], v[216:217], s[30:31]
	v_fma_f64 v[206:207], v[178:179], s[0:1], v[198:199]
	v_fma_f64 v[184:185], v[178:179], s[0:1], -v[198:199]
	v_fma_f64 v[186:187], v[218:219], s[10:11], -v[222:223]
	v_add_f64 v[16:17], v[206:207], v[16:17]
	v_mul_f64 v[206:207], v[200:201], s[34:35]
	v_add_f64 v[136:137], v[184:185], v[136:137]
	v_fma_f64 v[208:209], v[192:193], s[26:27], -v[206:207]
	v_fma_f64 v[184:185], v[192:193], s[26:27], v[206:207]
	v_add_f64 v[18:19], v[208:209], v[18:19]
	v_mul_f64 v[208:209], v[202:203], s[34:35]
	v_add_f64 v[138:139], v[184:185], v[138:139]
	v_fma_f64 v[184:185], v[194:195], s[26:27], -v[208:209]
	v_fma_f64 v[214:215], v[194:195], s[26:27], v[208:209]
	v_add_f64 v[184:185], v[184:185], v[136:137]
	v_fma_f64 v[136:137], v[212:213], s[10:11], v[220:221]
	v_add_f64 v[214:215], v[214:215], v[16:17]
	v_fma_f64 v[16:17], v[212:213], s[10:11], -v[220:221]
	v_mul_f64 v[220:221], v[210:211], s[20:21]
	v_add_f64 v[136:137], v[136:137], v[138:139]
	v_add_f64 v[138:139], v[186:187], v[184:185]
	v_mul_f64 v[184:185], v[160:161], s[36:37]
	v_add_f64 v[16:17], v[16:17], v[18:19]
	v_fma_f64 v[18:19], v[218:219], s[10:11], v[222:223]
	v_mul_f64 v[222:223], v[216:217], s[20:21]
	v_mul_f64 v[160:161], v[160:161], s[22:23]
	v_fma_f64 v[186:187], v[152:153], s[0:1], -v[184:185]
	v_fma_f64 v[184:185], v[152:153], s[0:1], v[184:185]
	v_add_f64 v[18:19], v[18:19], v[214:215]
	v_add_f64 v[168:169], v[186:187], v[168:169]
	v_mul_f64 v[186:187], v[162:163], s[36:37]
	v_add_f64 v[134:135], v[184:185], v[134:135]
	v_mul_f64 v[162:163], v[162:163], s[22:23]
	v_fma_f64 v[188:189], v[154:155], s[0:1], v[186:187]
	v_fma_f64 v[184:185], v[154:155], s[0:1], -v[186:187]
	v_fma_f64 v[186:187], v[218:219], s[8:9], -v[222:223]
	v_add_f64 v[166:167], v[188:189], v[166:167]
	v_mul_f64 v[188:189], v[172:173], s[28:29]
	v_add_f64 v[132:133], v[184:185], v[132:133]
	v_mul_f64 v[172:173], v[172:173], s[24:25]
	v_fma_f64 v[190:191], v[164:165], s[10:11], -v[188:189]
	v_fma_f64 v[184:185], v[164:165], s[10:11], v[188:189]
	v_add_f64 v[168:169], v[190:191], v[168:169]
	v_mul_f64 v[190:191], v[174:175], s[28:29]
	v_add_f64 v[134:135], v[184:185], v[134:135]
	v_mul_f64 v[174:175], v[174:175], s[24:25]
	v_fma_f64 v[196:197], v[170:171], s[10:11], v[190:191]
	v_fma_f64 v[184:185], v[170:171], s[10:11], -v[190:191]
	v_mul_f64 v[190:191], v[210:211], s[36:37]
	v_add_f64 v[166:167], v[196:197], v[166:167]
	v_mul_f64 v[196:197], v[180:181], s[34:35]
	v_add_f64 v[132:133], v[184:185], v[132:133]
	v_mul_f64 v[180:181], v[180:181], s[30:31]
	v_fma_f64 v[198:199], v[176:177], s[26:27], -v[196:197]
	v_fma_f64 v[184:185], v[176:177], s[26:27], v[196:197]
	v_mul_f64 v[196:197], v[216:217], s[36:37]
	v_add_f64 v[168:169], v[198:199], v[168:169]
	v_mul_f64 v[198:199], v[182:183], s[34:35]
	v_add_f64 v[134:135], v[184:185], v[134:135]
	v_mul_f64 v[182:183], v[182:183], s[30:31]
	v_fma_f64 v[206:207], v[178:179], s[26:27], v[198:199]
	v_fma_f64 v[184:185], v[178:179], s[26:27], -v[198:199]
	v_add_f64 v[166:167], v[206:207], v[166:167]
	v_mul_f64 v[206:207], v[200:201], s[22:23]
	v_add_f64 v[132:133], v[184:185], v[132:133]
	v_fma_f64 v[208:209], v[192:193], s[16:17], -v[206:207]
	v_fma_f64 v[184:185], v[192:193], s[16:17], v[206:207]
	v_add_f64 v[168:169], v[208:209], v[168:169]
	v_mul_f64 v[208:209], v[202:203], s[22:23]
	v_add_f64 v[134:135], v[184:185], v[134:135]
	v_fma_f64 v[184:185], v[194:195], s[16:17], -v[208:209]
	v_fma_f64 v[214:215], v[194:195], s[16:17], v[208:209]
	v_add_f64 v[184:185], v[184:185], v[132:133]
	v_fma_f64 v[132:133], v[212:213], s[8:9], v[220:221]
	v_add_f64 v[214:215], v[214:215], v[166:167]
	v_fma_f64 v[166:167], v[212:213], s[8:9], -v[220:221]
	v_add_f64 v[132:133], v[132:133], v[134:135]
	v_add_f64 v[134:135], v[186:187], v[184:185]
	v_fma_f64 v[184:185], v[152:153], s[16:17], -v[160:161]
	v_fma_f64 v[152:153], v[152:153], s[16:17], v[160:161]
	v_fma_f64 v[160:161], v[164:165], s[18:19], v[172:173]
	v_add_f64 v[166:167], v[166:167], v[168:169]
	v_fma_f64 v[168:169], v[218:219], s[8:9], v[222:223]
	v_add_f64 v[158:159], v[184:185], v[158:159]
	v_fma_f64 v[184:185], v[154:155], s[16:17], v[162:163]
	v_fma_f64 v[154:155], v[154:155], s[16:17], -v[162:163]
	v_fma_f64 v[162:163], v[170:171], s[18:19], -v[174:175]
	v_add_f64 v[150:151], v[152:153], v[150:151]
	v_fma_f64 v[152:153], v[176:177], s[10:11], v[180:181]
	v_add_f64 v[168:169], v[168:169], v[214:215]
	v_add_f64 v[156:157], v[184:185], v[156:157]
	v_fma_f64 v[184:185], v[164:165], s[18:19], -v[172:173]
	v_add_f64 v[148:149], v[154:155], v[148:149]
	v_fma_f64 v[154:155], v[178:179], s[10:11], -v[182:183]
	v_add_f64 v[150:151], v[160:161], v[150:151]
	v_add_f64 v[158:159], v[184:185], v[158:159]
	v_fma_f64 v[184:185], v[170:171], s[18:19], v[174:175]
	v_add_f64 v[148:149], v[162:163], v[148:149]
	v_add_f64 v[150:151], v[152:153], v[150:151]
	v_fma_f64 v[152:153], v[212:213], s[0:1], v[190:191]
	v_add_f64 v[156:157], v[184:185], v[156:157]
	v_fma_f64 v[184:185], v[176:177], s[10:11], -v[180:181]
	v_add_f64 v[148:149], v[154:155], v[148:149]
	v_fma_f64 v[154:155], v[218:219], s[0:1], -v[196:197]
	v_add_f64 v[158:159], v[184:185], v[158:159]
	v_fma_f64 v[184:185], v[178:179], s[10:11], v[182:183]
	v_add_f64 v[156:157], v[184:185], v[156:157]
	v_mul_f64 v[184:185], v[200:201], s[20:21]
	v_fma_f64 v[186:187], v[192:193], s[8:9], -v[184:185]
	v_fma_f64 v[160:161], v[192:193], s[8:9], v[184:185]
	v_add_f64 v[158:159], v[186:187], v[158:159]
	v_mul_f64 v[186:187], v[202:203], s[20:21]
	v_add_f64 v[150:151], v[160:161], v[150:151]
	v_fma_f64 v[188:189], v[194:195], s[8:9], v[186:187]
	v_fma_f64 v[162:163], v[194:195], s[8:9], -v[186:187]
	v_add_f64 v[188:189], v[188:189], v[156:157]
	v_fma_f64 v[156:157], v[212:213], s[0:1], -v[190:191]
	v_add_f64 v[160:161], v[162:163], v[148:149]
	v_add_f64 v[148:149], v[152:153], v[150:151]
	;; [unrolled: 1-line block ×3, first 2 shown]
	v_fma_f64 v[158:159], v[218:219], s[0:1], v[196:197]
	v_add_f64 v[150:151], v[154:155], v[160:161]
	v_cmp_gt_u16_e64 s0, 0x55, v224
	v_add_f64 v[158:159], v[158:159], v[188:189]
	ds_write_b128 v236, v[4:7] offset:272
	ds_write_b128 v236, v[8:11] offset:544
	;; [unrolled: 1-line block ×7, first 2 shown]
	ds_write_b128 v236, v[20:23]
	ds_write_b128 v236, v[132:135] offset:2176
	ds_write_b128 v236, v[136:139] offset:2448
	;; [unrolled: 1-line block ×5, first 2 shown]
	s_waitcnt lgkmcnt(0)
	s_barrier
	buffer_gl0_inv
	ds_read_b128 v[140:143], v255
	ds_read_b128 v[168:171], v255 offset:3536
	ds_read_b128 v[164:167], v255 offset:7072
	;; [unrolled: 1-line block ×7, first 2 shown]
	s_and_saveexec_b32 s1, s0
	s_cbranch_execz .LBB0_9
; %bb.8:
	ds_read_b128 v[132:135], v255 offset:2176
	ds_read_b128 v[136:139], v255 offset:5712
	;; [unrolled: 1-line block ×8, first 2 shown]
.LBB0_9:
	s_or_b32 exec_lo, exec_lo, s1
	buffer_load_dword v6, off, s[60:63], 0  ; 4-byte Folded Reload
	s_mov_b32 s9, 0x3fe6a09e
	s_waitcnt vmcnt(0)
	v_mad_u64_u32 v[4:5], null, 0x70, v6, s[2:3]
	v_add_nc_u32_e32 v10, 0x88, v6
	v_add_nc_u32_e32 v11, 0xffffffab, v6
	v_cndmask_b32_e64 v10, v11, v10, s0
	v_add_co_u32 v6, s1, 0x800, v4
	v_add_co_ci_u32_e64 v7, s1, 0, v5, s1
	v_add_co_u32 v8, s1, 0xcc0, v4
	v_add_co_ci_u32_e64 v9, s1, 0, v5, s1
	s_clause 0x3
	global_load_dwordx4 v[40:43], v[6:7], off offset:1216
	global_load_dwordx4 v[36:39], v[8:9], off offset:48
	;; [unrolled: 1-line block ×4, first 2 shown]
	v_mul_i32_i24_e32 v9, 0x70, v10
	v_mul_hi_i32_i24_e32 v8, 0x70, v10
	v_add_co_u32 v4, s1, 0xd00, v4
	v_add_co_ci_u32_e64 v5, s1, 0, v5, s1
	v_add_co_u32 v9, s1, s2, v9
	v_add_co_ci_u32_e64 v8, s1, s3, v8, s1
	global_load_dwordx4 v[48:51], v[6:7], off offset:1280
	v_add_co_u32 v6, s1, 0x800, v9
	v_add_co_ci_u32_e64 v7, s1, 0, v8, s1
	v_add_co_u32 v16, s1, 0xcc0, v9
	v_add_co_ci_u32_e64 v17, s1, 0, v8, s1
	s_clause 0x4
	global_load_dwordx4 v[56:59], v[4:5], off offset:16
	global_load_dwordx4 v[52:55], v[4:5], off offset:32
	;; [unrolled: 1-line block ×5, first 2 shown]
	v_add_co_u32 v4, s1, 0xd00, v9
	v_add_co_ci_u32_e64 v5, s1, 0, v8, s1
	s_clause 0x3
	global_load_dwordx4 v[14:17], v[16:17], off offset:48
	global_load_dwordx4 v[224:227], v[6:7], off offset:1280
	;; [unrolled: 1-line block ×4, first 2 shown]
	s_mov_b32 s2, 0x667f3bcd
	s_mov_b32 s3, 0xbfe6a09e
	;; [unrolled: 1-line block ×3, first 2 shown]
	s_waitcnt vmcnt(13) lgkmcnt(6)
	v_mul_f64 v[4:5], v[170:171], v[42:43]
	s_waitcnt vmcnt(12) lgkmcnt(3)
	v_mul_f64 v[180:181], v[154:155], v[38:39]
	s_waitcnt vmcnt(11)
	v_mul_f64 v[176:177], v[162:163], v[34:35]
	v_mul_f64 v[178:179], v[160:161], v[34:35]
	;; [unrolled: 1-line block ×4, first 2 shown]
	s_waitcnt vmcnt(10)
	v_mul_f64 v[172:173], v[166:167], v[46:47]
	v_mul_f64 v[174:175], v[164:165], v[46:47]
	s_waitcnt vmcnt(9) lgkmcnt(2)
	v_mul_f64 v[184:185], v[146:147], v[50:51]
	v_mul_f64 v[186:187], v[144:145], v[50:51]
	s_waitcnt vmcnt(8) lgkmcnt(1)
	v_mul_f64 v[188:189], v[158:159], v[58:59]
	v_mul_f64 v[190:191], v[156:157], v[58:59]
	s_waitcnt vmcnt(6)
	v_mul_f64 v[196:197], v[138:139], v[12:13]
	s_waitcnt vmcnt(5)
	;; [unrolled: 2-line block ×3, first 2 shown]
	v_mul_f64 v[200:201], v[130:131], v[24:25]
	v_mul_f64 v[198:199], v[136:137], v[12:13]
	;; [unrolled: 1-line block ×3, first 2 shown]
	s_waitcnt vmcnt(3)
	v_mul_f64 v[208:209], v[122:123], v[16:17]
	s_waitcnt vmcnt(2)
	v_mul_f64 v[212:213], v[118:119], v[226:227]
	v_mul_f64 v[206:207], v[124:125], v[20:21]
	s_waitcnt vmcnt(0) lgkmcnt(0)
	v_mul_f64 v[220:221], v[110:111], v[230:231]
	v_mul_f64 v[210:211], v[120:121], v[16:17]
	;; [unrolled: 1-line block ×4, first 2 shown]
	v_fma_f64 v[160:161], v[160:161], v[32:33], -v[176:177]
	buffer_store_dword v32, off, s[60:63], 0 offset:12 ; 4-byte Folded Spill
	buffer_store_dword v33, off, s[60:63], 0 offset:16 ; 4-byte Folded Spill
	;; [unrolled: 1-line block ×4, first 2 shown]
	v_fma_f64 v[152:153], v[152:153], v[36:37], -v[180:181]
	buffer_store_dword v36, off, s[60:63], 0 offset:28 ; 4-byte Folded Spill
	buffer_store_dword v37, off, s[60:63], 0 offset:32 ; 4-byte Folded Spill
	;; [unrolled: 1-line block ×4, first 2 shown]
	v_mul_f64 v[192:193], v[150:151], v[54:55]
	v_mul_f64 v[194:195], v[148:149], v[54:55]
	;; [unrolled: 1-line block ×4, first 2 shown]
	v_fma_f64 v[4:5], v[168:169], v[40:41], -v[4:5]
	v_fma_f64 v[6:7], v[170:171], v[40:41], v[6:7]
	v_fma_f64 v[136:137], v[136:137], v[10:11], -v[196:197]
	buffer_store_dword v10, off, s[60:63], 0 offset:48 ; 4-byte Folded Spill
	buffer_store_dword v11, off, s[60:63], 0 offset:52 ; 4-byte Folded Spill
	;; [unrolled: 1-line block ×4, first 2 shown]
	v_fma_f64 v[128:129], v[128:129], v[22:23], -v[200:201]
	buffer_store_dword v22, off, s[60:63], 0 offset:80 ; 4-byte Folded Spill
	buffer_store_dword v23, off, s[60:63], 0 offset:84 ; 4-byte Folded Spill
	;; [unrolled: 1-line block ×4, first 2 shown]
	v_fma_f64 v[124:125], v[124:125], v[18:19], -v[204:205]
	v_fma_f64 v[120:121], v[120:121], v[14:15], -v[208:209]
	buffer_store_dword v14, off, s[60:63], 0 offset:96 ; 4-byte Folded Spill
	buffer_store_dword v15, off, s[60:63], 0 offset:100 ; 4-byte Folded Spill
	;; [unrolled: 1-line block ×4, first 2 shown]
	v_fma_f64 v[116:117], v[116:117], v[224:225], -v[212:213]
	buffer_store_dword v224, off, s[60:63], 0 offset:112 ; 4-byte Folded Spill
	buffer_store_dword v225, off, s[60:63], 0 offset:116 ; 4-byte Folded Spill
	;; [unrolled: 1-line block ×8, first 2 shown]
	v_fma_f64 v[108:109], v[108:109], v[228:229], -v[220:221]
	buffer_store_dword v228, off, s[60:63], 0 offset:128 ; 4-byte Folded Spill
	buffer_store_dword v229, off, s[60:63], 0 offset:132 ; 4-byte Folded Spill
	;; [unrolled: 1-line block ×4, first 2 shown]
	v_fma_f64 v[164:165], v[164:165], v[44:45], -v[172:173]
	v_fma_f64 v[166:167], v[166:167], v[44:45], v[174:175]
	v_fma_f64 v[156:157], v[156:157], v[56:57], -v[188:189]
	v_fma_f64 v[158:159], v[158:159], v[56:57], v[190:191]
	;; [unrolled: 2-line block ×5, first 2 shown]
	v_add_f64 v[152:153], v[140:141], -v[152:153]
	v_add_f64 v[120:121], v[132:133], -v[120:121]
	;; [unrolled: 1-line block ×10, first 2 shown]
	v_fma_f64 v[140:141], v[140:141], 2.0, -v[152:153]
	v_fma_f64 v[132:133], v[132:133], 2.0, -v[120:121]
	;; [unrolled: 1-line block ×9, first 2 shown]
	v_add_f64 v[176:177], v[152:153], -v[158:159]
	v_add_f64 v[148:149], v[146:147], v[148:149]
	v_fma_f64 v[128:129], v[128:129], 2.0, -v[112:113]
	v_add_f64 v[172:173], v[140:141], -v[164:165]
	v_fma_f64 v[152:153], v[152:153], 2.0, -v[176:177]
	v_fma_f64 v[146:147], v[146:147], 2.0, -v[148:149]
	v_add_f64 v[184:185], v[132:133], -v[128:129]
	v_fma_f64 v[140:141], v[140:141], 2.0, -v[172:173]
	v_fma_f64 v[192:193], v[132:133], 2.0, -v[184:185]
	v_fma_f64 v[162:163], v[162:163], v[32:33], v[178:179]
	v_fma_f64 v[154:155], v[154:155], v[36:37], v[182:183]
	v_fma_f64 v[138:139], v[138:139], v[10:11], v[198:199]
	v_fma_f64 v[130:131], v[130:131], v[22:23], v[202:203]
	v_fma_f64 v[122:123], v[122:123], v[14:15], v[210:211]
	v_fma_f64 v[118:119], v[118:119], v[224:225], v[214:215]
	v_fma_f64 v[126:127], v[126:127], v[18:19], v[206:207]
	v_fma_f64 v[110:111], v[110:111], v[228:229], v[222:223]
	v_add_f64 v[150:151], v[162:163], -v[150:151]
	v_add_f64 v[154:155], v[142:143], -v[154:155]
	;; [unrolled: 1-line block ×6, first 2 shown]
	v_fma_f64 v[162:163], v[162:163], 2.0, -v[150:151]
	v_add_f64 v[150:151], v[144:145], -v[150:151]
	v_fma_f64 v[142:143], v[142:143], 2.0, -v[154:155]
	v_add_f64 v[178:179], v[154:155], v[156:157]
	v_add_f64 v[156:157], v[4:5], -v[160:161]
	v_fma_f64 v[130:131], v[130:131], 2.0, -v[114:115]
	v_add_f64 v[114:115], v[120:121], -v[114:115]
	v_fma_f64 v[134:135], v[134:135], 2.0, -v[122:123]
	v_add_f64 v[112:113], v[122:123], v[112:113]
	v_fma_f64 v[138:139], v[138:139], 2.0, -v[118:119]
	v_add_f64 v[108:109], v[118:119], v[108:109]
	v_fma_f64 v[126:127], v[126:127], 2.0, -v[110:111]
	v_add_f64 v[110:111], v[116:117], -v[110:111]
	v_add_f64 v[158:159], v[6:7], -v[162:163]
	v_fma_f64 v[144:145], v[144:145], 2.0, -v[150:151]
	v_add_f64 v[174:175], v[142:143], -v[166:167]
	v_fma_f64 v[154:155], v[154:155], 2.0, -v[178:179]
	v_fma_f64 v[4:5], v[4:5], 2.0, -v[156:157]
	;; [unrolled: 1-line block ×3, first 2 shown]
	v_add_f64 v[120:121], v[136:137], -v[124:125]
	v_add_f64 v[186:187], v[134:135], -v[130:131]
	v_fma_f64 v[190:191], v[122:123], 2.0, -v[112:113]
	v_fma_f64 v[124:125], v[150:151], s[8:9], v[176:177]
	v_fma_f64 v[118:119], v[118:119], 2.0, -v[108:109]
	v_fma_f64 v[196:197], v[108:109], s[8:9], v[112:113]
	v_add_f64 v[122:123], v[138:139], -v[126:127]
	v_fma_f64 v[116:117], v[116:117], 2.0, -v[110:111]
	v_fma_f64 v[126:127], v[148:149], s[8:9], v[178:179]
	v_fma_f64 v[128:129], v[110:111], s[8:9], v[114:115]
	v_fma_f64 v[142:143], v[142:143], 2.0, -v[174:175]
	v_fma_f64 v[6:7], v[6:7], 2.0, -v[158:159]
	v_fma_f64 v[130:131], v[144:145], s[2:3], v[152:153]
	v_fma_f64 v[170:171], v[146:147], s[2:3], v[154:155]
	v_add_f64 v[160:161], v[172:173], -v[158:159]
	v_add_f64 v[162:163], v[174:175], v[156:157]
	v_add_f64 v[164:165], v[140:141], -v[4:5]
	v_fma_f64 v[132:133], v[136:137], 2.0, -v[120:121]
	v_fma_f64 v[194:195], v[134:135], 2.0, -v[186:187]
	v_fma_f64 v[156:157], v[148:149], s[2:3], v[124:125]
	v_fma_f64 v[182:183], v[118:119], s[2:3], v[190:191]
	v_fma_f64 v[134:135], v[138:139], 2.0, -v[122:123]
	v_fma_f64 v[180:181], v[116:117], s[2:3], v[188:189]
	v_fma_f64 v[158:159], v[150:151], s[8:9], v[126:127]
	v_add_f64 v[124:125], v[184:185], -v[122:123]
	v_add_f64 v[126:127], v[186:187], v[120:121]
	v_add_f64 v[166:167], v[142:143], -v[6:7]
	v_fma_f64 v[168:169], v[146:147], s[2:3], v[130:131]
	v_fma_f64 v[170:171], v[144:145], s[8:9], v[170:171]
	;; [unrolled: 1-line block ×4, first 2 shown]
	v_fma_f64 v[172:173], v[172:173], 2.0, -v[160:161]
	v_fma_f64 v[174:175], v[174:175], 2.0, -v[162:163]
	v_add_f64 v[136:137], v[192:193], -v[132:133]
	v_fma_f64 v[132:133], v[140:141], 2.0, -v[164:165]
	v_fma_f64 v[130:131], v[116:117], s[8:9], v[182:183]
	v_add_f64 v[138:139], v[194:195], -v[134:135]
	v_fma_f64 v[128:129], v[118:119], s[2:3], v[180:181]
	v_fma_f64 v[180:181], v[176:177], 2.0, -v[156:157]
	v_fma_f64 v[182:183], v[178:179], 2.0, -v[158:159]
	;; [unrolled: 1-line block ×9, first 2 shown]
	ds_write_b128 v255, v[132:135]
	ds_write_b128 v255, v[176:179] offset:3536
	ds_write_b128 v255, v[172:175] offset:7072
	ds_write_b128 v255, v[180:183] offset:10608
	ds_write_b128 v255, v[164:167] offset:14144
	ds_write_b128 v255, v[168:171] offset:17680
	ds_write_b128 v255, v[160:163] offset:21216
	ds_write_b128 v255, v[156:159] offset:24752
	v_fma_f64 v[148:149], v[192:193], 2.0, -v[136:137]
	v_fma_f64 v[150:151], v[194:195], 2.0, -v[138:139]
	;; [unrolled: 1-line block ×4, first 2 shown]
	s_and_saveexec_b32 s1, s0
	s_cbranch_execz .LBB0_11
; %bb.10:
	ds_write_b128 v255, v[148:151] offset:2176
	ds_write_b128 v255, v[152:155] offset:5712
	;; [unrolled: 1-line block ×8, first 2 shown]
.LBB0_11:
	s_or_b32 exec_lo, exec_lo, s1
	s_waitcnt lgkmcnt(0)
	s_waitcnt_vscnt null, 0x0
	s_barrier
	buffer_gl0_inv
	s_and_saveexec_b32 s8, vcc_lo
	s_cbranch_execz .LBB0_13
; %bb.12:
	s_add_u32 s2, s12, 0x6e80
	s_addc_u32 s3, s13, 0
	v_add_co_u32 v8, s1, s2, v255
	s_clause 0x1
	global_load_dwordx4 v[4:7], v255, s[2:3]
	global_load_dwordx4 v[114:117], v255, s[2:3] offset:1664
	v_add_co_ci_u32_e64 v9, null, s3, 0, s1
	v_add_co_u32 v108, s1, 0x800, v8
	v_add_co_ci_u32_e64 v109, s1, 0, v9, s1
	global_load_dwordx4 v[184:187], v[108:109], off offset:1280
	v_add_co_u32 v108, s1, 0x1000, v8
	v_add_co_ci_u32_e64 v109, s1, 0, v9, s1
	global_load_dwordx4 v[188:191], v[108:109], off offset:896
	;; [unrolled: 3-line block ×3, first 2 shown]
	v_add_co_u32 v108, s1, 0x2000, v8
	v_add_co_ci_u32_e64 v109, s1, 0, v9, s1
	s_clause 0x1
	global_load_dwordx4 v[196:199], v[108:109], off offset:128
	global_load_dwordx4 v[200:203], v[108:109], off offset:1792
	v_add_co_u32 v108, s1, 0x2800, v8
	v_add_co_ci_u32_e64 v109, s1, 0, v9, s1
	global_load_dwordx4 v[204:207], v[108:109], off offset:1408
	v_add_co_u32 v108, s1, 0x3000, v8
	v_add_co_ci_u32_e64 v109, s1, 0, v9, s1
	;; [unrolled: 3-line block ×3, first 2 shown]
	v_add_co_u32 v118, s1, 0x4000, v8
	v_add_co_ci_u32_e64 v119, s1, 0, v9, s1
	global_load_dwordx4 v[212:215], v[108:109], off offset:640
	ds_read_b128 v[108:111], v255
	ds_read_b128 v[216:219], v255 offset:1664
	ds_read_b128 v[224:227], v255 offset:3328
	global_load_dwordx4 v[220:223], v[118:119], off offset:256
	s_waitcnt vmcnt(10) lgkmcnt(2)
	v_mul_f64 v[112:113], v[110:111], v[6:7]
	v_mul_f64 v[6:7], v[108:109], v[6:7]
	s_waitcnt vmcnt(9) lgkmcnt(1)
	v_mul_f64 v[228:229], v[218:219], v[116:117]
	v_fma_f64 v[108:109], v[108:109], v[4:5], -v[112:113]
	v_fma_f64 v[110:111], v[110:111], v[4:5], v[6:7]
	v_mul_f64 v[4:5], v[216:217], v[116:117]
	v_fma_f64 v[112:113], v[216:217], v[114:115], -v[228:229]
	global_load_dwordx4 v[228:231], v[118:119], off offset:1920
	v_fma_f64 v[114:115], v[218:219], v[114:115], v[4:5]
	ds_read_b128 v[4:7], v255 offset:4992
	s_waitcnt vmcnt(9) lgkmcnt(1)
	v_mul_f64 v[116:117], v[226:227], v[186:187]
	v_mul_f64 v[186:187], v[224:225], v[186:187]
	ds_read_b128 v[216:219], v255 offset:6656
	v_fma_f64 v[116:117], v[224:225], v[184:185], -v[116:117]
	v_fma_f64 v[118:119], v[226:227], v[184:185], v[186:187]
	s_waitcnt vmcnt(8) lgkmcnt(1)
	v_mul_f64 v[184:185], v[6:7], v[190:191]
	v_mul_f64 v[186:187], v[4:5], v[190:191]
	v_fma_f64 v[184:185], v[4:5], v[188:189], -v[184:185]
	v_fma_f64 v[186:187], v[6:7], v[188:189], v[186:187]
	ds_read_b128 v[4:7], v255 offset:8320
	s_waitcnt vmcnt(7) lgkmcnt(1)
	v_mul_f64 v[190:191], v[218:219], v[194:195]
	v_mul_f64 v[194:195], v[216:217], v[194:195]
	v_add_co_u32 v188, s1, 0x4800, v8
	v_add_co_ci_u32_e64 v189, s1, 0, v9, s1
	global_load_dwordx4 v[224:227], v[188:189], off offset:1536
	v_fma_f64 v[188:189], v[216:217], v[192:193], -v[190:191]
	v_fma_f64 v[190:191], v[218:219], v[192:193], v[194:195]
	s_waitcnt vmcnt(7) lgkmcnt(0)
	v_mul_f64 v[192:193], v[6:7], v[198:199]
	v_mul_f64 v[194:195], v[4:5], v[198:199]
	ds_read_b128 v[216:219], v255 offset:9984
	s_waitcnt vmcnt(6) lgkmcnt(0)
	v_mul_f64 v[198:199], v[216:217], v[202:203]
	v_fma_f64 v[192:193], v[4:5], v[196:197], -v[192:193]
	v_add_co_u32 v4, s1, 0x5000, v8
	v_add_co_ci_u32_e64 v5, s1, 0, v9, s1
	v_fma_f64 v[194:195], v[6:7], v[196:197], v[194:195]
	v_mul_f64 v[196:197], v[218:219], v[202:203]
	global_load_dwordx4 v[4:7], v[4:5], off offset:1152
	v_fma_f64 v[198:199], v[218:219], v[200:201], v[198:199]
	v_fma_f64 v[196:197], v[216:217], v[200:201], -v[196:197]
	ds_read_b128 v[200:203], v255 offset:11648
	s_waitcnt vmcnt(6) lgkmcnt(0)
	v_mul_f64 v[216:217], v[202:203], v[206:207]
	v_mul_f64 v[206:207], v[200:201], v[206:207]
	v_fma_f64 v[200:201], v[200:201], v[204:205], -v[216:217]
	v_fma_f64 v[202:203], v[202:203], v[204:205], v[206:207]
	ds_read_b128 v[204:207], v255 offset:13312
	s_waitcnt vmcnt(5) lgkmcnt(0)
	v_mul_f64 v[216:217], v[206:207], v[210:211]
	v_mul_f64 v[210:211], v[204:205], v[210:211]
	v_fma_f64 v[204:205], v[204:205], v[208:209], -v[216:217]
	v_fma_f64 v[206:207], v[206:207], v[208:209], v[210:211]
	;; [unrolled: 6-line block ×7, first 2 shown]
	v_add_co_u32 v4, s1, 0x5800, v8
	v_add_co_ci_u32_e64 v5, s1, 0, v9, s1
	ds_read_b128 v[228:231], v255 offset:23296
	global_load_dwordx4 v[4:7], v[4:5], off offset:768
	s_waitcnt vmcnt(0) lgkmcnt(0)
	v_mul_f64 v[232:233], v[230:231], v[6:7]
	v_mul_f64 v[6:7], v[228:229], v[6:7]
	v_fma_f64 v[228:229], v[228:229], v[4:5], -v[232:233]
	v_fma_f64 v[230:231], v[230:231], v[4:5], v[6:7]
	v_add_co_u32 v4, s1, 0x6000, v8
	v_add_co_ci_u32_e64 v5, s1, 0, v9, s1
	ds_read_b128 v[232:235], v255 offset:24960
	global_load_dwordx4 v[4:7], v[4:5], off offset:384
	s_waitcnt vmcnt(0) lgkmcnt(0)
	v_mul_f64 v[237:238], v[234:235], v[6:7]
	v_mul_f64 v[6:7], v[232:233], v[6:7]
	v_fma_f64 v[232:233], v[232:233], v[4:5], -v[237:238]
	v_fma_f64 v[234:235], v[234:235], v[4:5], v[6:7]
	v_or_b32_e32 v4, 0x6800, v255
	ds_read_b128 v[237:240], v255 offset:26624
	global_load_dwordx4 v[4:7], v4, s[2:3]
	s_waitcnt vmcnt(0) lgkmcnt(0)
	v_mul_f64 v[241:242], v[239:240], v[6:7]
	v_mul_f64 v[6:7], v[237:238], v[6:7]
	v_fma_f64 v[237:238], v[237:238], v[4:5], -v[241:242]
	v_fma_f64 v[239:240], v[239:240], v[4:5], v[6:7]
	ds_write_b128 v255, v[108:111]
	ds_write_b128 v255, v[112:115] offset:1664
	ds_write_b128 v255, v[116:119] offset:3328
	;; [unrolled: 1-line block ×16, first 2 shown]
.LBB0_13:
	s_or_b32 exec_lo, exec_lo, s8
	s_waitcnt lgkmcnt(0)
	s_barrier
	buffer_gl0_inv
	s_and_saveexec_b32 s1, vcc_lo
	s_cbranch_execz .LBB0_15
; %bb.14:
	ds_read_b128 v[132:135], v255
	ds_read_b128 v[176:179], v255 offset:1664
	ds_read_b128 v[172:175], v255 offset:3328
	;; [unrolled: 1-line block ×16, first 2 shown]
.LBB0_15:
	s_or_b32 exec_lo, exec_lo, s1
	s_waitcnt lgkmcnt(0)
	v_add_f64 v[249:250], v[178:179], -v[2:3]
	v_add_f64 v[202:203], v[2:3], v[178:179]
	s_mov_b32 s16, 0x2a9d6da3
	s_mov_b32 s2, 0x75d4884
	;; [unrolled: 1-line block ×4, first 2 shown]
	v_add_f64 v[245:246], v[0:1], v[176:177]
	v_add_f64 v[184:185], v[174:175], -v[122:123]
	v_add_f64 v[232:233], v[176:177], -v[0:1]
	v_add_f64 v[188:189], v[174:175], v[122:123]
	s_mov_b32 s8, 0xeb564b22
	s_mov_b32 s20, 0x3259b75e
	;; [unrolled: 1-line block ×4, first 2 shown]
	v_add_f64 v[186:187], v[172:173], v[120:121]
	v_add_f64 v[190:191], v[182:183], -v[126:127]
	v_add_f64 v[198:199], v[172:173], -v[120:121]
	v_add_f64 v[194:195], v[126:127], v[182:183]
	s_mov_b32 s10, 0x6c9a05f6
	s_mov_b32 s18, 0x6ed5f1bb
	;; [unrolled: 1-line block ×4, first 2 shown]
	v_mul_f64 v[4:5], v[249:250], s[16:17]
	v_mul_f64 v[6:7], v[202:203], s[2:3]
	v_add_f64 v[192:193], v[124:125], v[180:181]
	v_add_f64 v[204:205], v[166:167], -v[130:131]
	v_add_f64 v[208:209], v[180:181], -v[124:125]
	v_add_f64 v[210:211], v[130:131], v[166:167]
	s_mov_b32 s22, 0xacd6c6b4
	v_mul_f64 v[10:11], v[184:185], s[8:9]
	s_mov_b32 s24, 0x7faef3
	v_mul_f64 v[12:13], v[188:189], s[20:21]
	s_mov_b32 s23, 0xbfc7851a
	s_mov_b32 s25, 0xbfef7484
	v_add_f64 v[206:207], v[128:129], v[164:165]
	v_add_f64 v[212:213], v[164:165], -v[128:129]
	v_add_f64 v[220:221], v[170:171], -v[138:139]
	v_mul_f64 v[8:9], v[190:191], s[10:11]
	s_mov_b32 s36, 0x4363dd80
	v_mul_f64 v[18:19], v[194:195], s[18:19]
	s_mov_b32 s37, 0x3fe0d888
	v_add_f64 v[222:223], v[168:169], v[136:137]
	v_add_f64 v[224:225], v[170:171], v[138:139]
	s_mov_b32 s26, 0x910ea3b9
	buffer_store_dword v4, off, s[60:63], 0 offset:208 ; 4-byte Folded Spill
	buffer_store_dword v5, off, s[60:63], 0 offset:212 ; 4-byte Folded Spill
	;; [unrolled: 1-line block ×4, first 2 shown]
	s_mov_b32 s27, 0xbfeb34fa
	v_mul_f64 v[14:15], v[204:205], s[22:23]
	v_add_f64 v[226:227], v[168:169], -v[136:137]
	v_mul_f64 v[16:17], v[210:211], s[24:25]
	v_add_f64 v[230:231], v[162:163], -v[142:143]
	v_fma_f64 v[108:109], v[186:187], s[20:21], -v[10:11]
	s_mov_b32 s34, 0x923c349f
	v_fma_f64 v[110:111], v[198:199], s[8:9], v[12:13]
	s_mov_b32 s35, 0x3feec746
	v_add_f64 v[228:229], v[140:141], v[160:161]
	v_add_f64 v[237:238], v[142:143], v[162:163]
	s_mov_b32 s30, 0xc61f0d01
	v_mul_f64 v[22:23], v[220:221], s[36:37]
	v_fma_f64 v[112:113], v[192:193], s[18:19], -v[8:9]
	s_mov_b32 s31, 0xbfd183b1
	v_add_f64 v[239:240], v[160:161], -v[140:141]
	v_add_f64 v[251:252], v[158:159], -v[146:147]
	s_mov_b32 s44, 0x7c9e640b
	v_mul_f64 v[20:21], v[224:225], s[26:27]
	s_mov_b32 s45, 0xbfeca52d
	s_mov_b32 s39, 0x3feca52d
	s_mov_b32 s38, s44
	v_add_f64 v[241:242], v[156:157], v[144:145]
	v_add_f64 v[247:248], v[158:159], v[146:147]
	s_mov_b32 s28, 0x2b2883cd
	s_mov_b32 s29, 0x3fdc86fa
	v_mul_f64 v[24:25], v[230:231], s[34:35]
	v_add_f64 v[196:197], v[156:157], -v[144:145]
	v_add_f64 v[200:201], v[150:151], -v[154:155]
	s_mov_b32 s42, 0x5d8e7cdc
	s_mov_b32 s43, 0x3fd71e95
	v_add_f64 v[243:244], v[148:149], v[152:153]
	v_mul_f64 v[26:27], v[237:238], s[30:31]
	v_add_f64 v[253:254], v[150:151], v[154:155]
	s_mov_b32 s40, 0x370991
	s_mov_b32 s41, 0x3fedd6d0
	v_add_f64 v[218:219], v[148:149], -v[152:153]
	v_mul_f64 v[214:215], v[249:250], s[44:45]
	v_mul_f64 v[32:33], v[251:252], s[38:39]
	;; [unrolled: 1-line block ×3, first 2 shown]
	s_mov_b32 s53, 0x3fc7851a
	s_mov_b32 s52, s22
	;; [unrolled: 1-line block ×5, first 2 shown]
	v_mul_f64 v[36:37], v[247:248], s[28:29]
	s_mov_b32 s46, s42
	s_mov_b32 s51, 0xbfe0d888
	;; [unrolled: 1-line block ×3, first 2 shown]
	v_mul_f64 v[118:119], v[188:189], s[24:25]
	v_mul_f64 v[34:35], v[200:201], s[42:43]
	;; [unrolled: 1-line block ×3, first 2 shown]
	s_mov_b32 s54, s10
	v_mul_f64 v[38:39], v[253:254], s[40:41]
	v_fma_f64 v[4:5], v[245:246], s[2:3], -v[4:5]
	v_fma_f64 v[6:7], v[232:233], s[16:17], v[6:7]
	v_add_f64 v[4:5], v[132:133], v[4:5]
	v_add_f64 v[6:7], v[134:135], v[6:7]
	;; [unrolled: 1-line block ×4, first 2 shown]
	v_fma_f64 v[108:109], v[208:209], s[10:11], v[18:19]
	v_fma_f64 v[110:111], v[206:207], s[24:25], -v[14:15]
	v_add_f64 v[4:5], v[112:113], v[4:5]
	v_mul_f64 v[112:113], v[188:189], s[18:19]
	v_add_f64 v[6:7], v[108:109], v[6:7]
	v_fma_f64 v[108:109], v[212:213], s[22:23], v[16:17]
	v_add_f64 v[4:5], v[110:111], v[4:5]
	v_add_f64 v[6:7], v[108:109], v[6:7]
	v_fma_f64 v[108:109], v[222:223], s[26:27], -v[22:23]
	v_add_f64 v[4:5], v[108:109], v[4:5]
	v_fma_f64 v[108:109], v[226:227], s[36:37], v[20:21]
	v_add_f64 v[6:7], v[108:109], v[6:7]
	v_fma_f64 v[108:109], v[228:229], s[30:31], -v[24:25]
	v_add_f64 v[4:5], v[108:109], v[4:5]
	v_fma_f64 v[108:109], v[239:240], s[34:35], v[26:27]
	;; [unrolled: 4-line block ×4, first 2 shown]
	v_add_f64 v[110:111], v[4:5], v[6:7]
	v_mul_f64 v[6:7], v[184:185], s[10:11]
	v_fma_f64 v[4:5], v[245:246], s[28:29], -v[214:215]
	buffer_store_dword v6, off, s[60:63], 0 offset:224 ; 4-byte Folded Spill
	buffer_store_dword v7, off, s[60:63], 0 offset:228 ; 4-byte Folded Spill
	;; [unrolled: 1-line block ×4, first 2 shown]
	v_add_f64 v[4:5], v[132:133], v[4:5]
	v_fma_f64 v[6:7], v[186:187], s[18:19], -v[6:7]
	v_fma_f64 v[112:113], v[198:199], s[10:11], v[112:113]
	v_add_f64 v[4:5], v[6:7], v[4:5]
	v_fma_f64 v[6:7], v[232:233], s[44:45], v[216:217]
	v_add_f64 v[6:7], v[134:135], v[6:7]
	v_add_f64 v[6:7], v[112:113], v[6:7]
	v_mul_f64 v[112:113], v[190:191], s[52:53]
	buffer_store_dword v112, off, s[60:63], 0 offset:232 ; 4-byte Folded Spill
	buffer_store_dword v113, off, s[60:63], 0 offset:236 ; 4-byte Folded Spill
	v_fma_f64 v[112:113], v[192:193], s[24:25], -v[112:113]
	v_add_f64 v[4:5], v[112:113], v[4:5]
	v_mul_f64 v[112:113], v[194:195], s[24:25]
	buffer_store_dword v112, off, s[60:63], 0 offset:272 ; 4-byte Folded Spill
	buffer_store_dword v113, off, s[60:63], 0 offset:276 ; 4-byte Folded Spill
	v_fma_f64 v[112:113], v[208:209], s[52:53], v[112:113]
	v_add_f64 v[6:7], v[112:113], v[6:7]
	v_mul_f64 v[112:113], v[204:205], s[34:35]
	buffer_store_dword v112, off, s[60:63], 0 offset:256 ; 4-byte Folded Spill
	buffer_store_dword v113, off, s[60:63], 0 offset:260 ; 4-byte Folded Spill
	v_fma_f64 v[112:113], v[206:207], s[30:31], -v[112:113]
	v_add_f64 v[4:5], v[112:113], v[4:5]
	v_mul_f64 v[112:113], v[210:211], s[30:31]
	buffer_store_dword v112, off, s[60:63], 0 offset:264 ; 4-byte Folded Spill
	buffer_store_dword v113, off, s[60:63], 0 offset:268 ; 4-byte Folded Spill
	v_fma_f64 v[112:113], v[212:213], s[34:35], v[112:113]
	;; [unrolled: 10-line block ×6, first 2 shown]
	v_add_f64 v[114:115], v[4:5], v[6:7]
	v_mul_f64 v[6:7], v[184:185], s[22:23]
	buffer_store_dword v6, off, s[60:63], 0 offset:336 ; 4-byte Folded Spill
	buffer_store_dword v7, off, s[60:63], 0 offset:340 ; 4-byte Folded Spill
	;; [unrolled: 1-line block ×4, first 2 shown]
	v_fma_f64 v[4:5], v[245:246], s[20:21], -v[234:235]
	v_add_f64 v[4:5], v[132:133], v[4:5]
	v_fma_f64 v[6:7], v[186:187], s[24:25], -v[6:7]
	v_fma_f64 v[118:119], v[198:199], s[22:23], v[118:119]
	v_add_f64 v[6:7], v[6:7], v[4:5]
	v_mul_f64 v[4:5], v[202:203], s[20:21]
	v_fma_f64 v[116:117], v[232:233], s[8:9], v[4:5]
	v_add_f64 v[116:117], v[134:135], v[116:117]
	v_add_f64 v[116:117], v[118:119], v[116:117]
	v_mul_f64 v[118:119], v[190:191], s[34:35]
	buffer_store_dword v118, off, s[60:63], 0 offset:312 ; 4-byte Folded Spill
	buffer_store_dword v119, off, s[60:63], 0 offset:316 ; 4-byte Folded Spill
	v_fma_f64 v[118:119], v[192:193], s[30:31], -v[118:119]
	v_add_f64 v[6:7], v[118:119], v[6:7]
	v_mul_f64 v[118:119], v[194:195], s[30:31]
	buffer_store_dword v118, off, s[60:63], 0 offset:384 ; 4-byte Folded Spill
	buffer_store_dword v119, off, s[60:63], 0 offset:388 ; 4-byte Folded Spill
	v_fma_f64 v[118:119], v[208:209], s[34:35], v[118:119]
	v_add_f64 v[116:117], v[118:119], v[116:117]
	v_mul_f64 v[118:119], v[204:205], s[42:43]
	buffer_store_dword v118, off, s[60:63], 0 offset:304 ; 4-byte Folded Spill
	buffer_store_dword v119, off, s[60:63], 0 offset:308 ; 4-byte Folded Spill
	v_fma_f64 v[118:119], v[206:207], s[40:41], -v[118:119]
	v_add_f64 v[6:7], v[118:119], v[6:7]
	v_mul_f64 v[118:119], v[210:211], s[40:41]
	buffer_store_dword v118, off, s[60:63], 0 offset:376 ; 4-byte Folded Spill
	buffer_store_dword v119, off, s[60:63], 0 offset:380 ; 4-byte Folded Spill
	v_fma_f64 v[118:119], v[212:213], s[42:43], v[118:119]
	;; [unrolled: 10-line block ×5, first 2 shown]
	v_add_f64 v[118:119], v[118:119], v[116:117]
	v_mul_f64 v[116:117], v[200:201], s[48:49]
	buffer_store_dword v116, off, s[60:63], 0 offset:200 ; 4-byte Folded Spill
	buffer_store_dword v117, off, s[60:63], 0 offset:204 ; 4-byte Folded Spill
	v_fma_f64 v[116:117], v[243:244], s[2:3], -v[116:117]
	v_add_f64 v[116:117], v[116:117], v[6:7]
	v_mul_f64 v[6:7], v[253:254], s[2:3]
	buffer_store_dword v6, off, s[60:63], 0 offset:240 ; 4-byte Folded Spill
	buffer_store_dword v7, off, s[60:63], 0 offset:244 ; 4-byte Folded Spill
	s_waitcnt_vscnt null, 0x0
	s_barrier
	buffer_gl0_inv
	v_fma_f64 v[6:7], v[218:219], s[48:49], v[6:7]
	v_add_f64 v[118:119], v[6:7], v[118:119]
	s_and_saveexec_b32 s1, vcc_lo
	s_cbranch_execz .LBB0_17
; %bb.16:
	v_add_f64 v[176:177], v[132:133], v[176:177]
	v_add_f64 v[6:7], v[134:135], v[178:179]
	s_mov_b32 s57, 0xbfeec746
	s_mov_b32 s56, s34
	v_mul_f64 v[178:179], v[249:250], s[50:51]
	s_mov_b32 s59, 0x3fefdd0d
	s_mov_b32 s58, s8
	v_add_f64 v[172:173], v[172:173], v[176:177]
	v_add_f64 v[6:7], v[174:175], v[6:7]
	v_mul_f64 v[176:177], v[249:250], s[22:23]
	v_add_f64 v[172:173], v[180:181], v[172:173]
	v_add_f64 v[6:7], v[182:183], v[6:7]
	v_mul_f64 v[180:181], v[249:250], s[10:11]
	v_mul_f64 v[182:183], v[249:250], s[46:47]
	v_add_f64 v[164:165], v[164:165], v[172:173]
	v_add_f64 v[6:7], v[166:167], v[6:7]
	;; [unrolled: 1-line block ×6, first 2 shown]
	v_mul_f64 v[162:163], v[232:233], s[46:47]
	v_mul_f64 v[164:165], v[232:233], s[56:57]
	v_add_f64 v[156:157], v[156:157], v[160:161]
	v_add_f64 v[6:7], v[158:159], v[6:7]
	v_mul_f64 v[158:159], v[232:233], s[50:51]
	v_mul_f64 v[160:161], v[232:233], s[10:11]
	v_fma_f64 v[172:173], v[202:203], s[40:41], v[162:163]
	v_fma_f64 v[162:163], v[202:203], s[40:41], -v[162:163]
	v_fma_f64 v[174:175], v[202:203], s[30:31], v[164:165]
	v_fma_f64 v[164:165], v[202:203], s[30:31], -v[164:165]
	v_add_f64 v[148:149], v[148:149], v[156:157]
	v_add_f64 v[6:7], v[150:151], v[6:7]
	v_mul_f64 v[150:151], v[232:233], s[16:17]
	v_fma_f64 v[168:169], v[202:203], s[26:27], v[158:159]
	v_fma_f64 v[158:159], v[202:203], s[26:27], -v[158:159]
	v_fma_f64 v[170:171], v[202:203], s[18:19], v[160:161]
	v_fma_f64 v[160:161], v[202:203], s[18:19], -v[160:161]
	v_add_f64 v[172:173], v[134:135], v[172:173]
	v_add_f64 v[162:163], v[134:135], v[162:163]
	;; [unrolled: 1-line block ×5, first 2 shown]
	s_clause 0x3
	buffer_load_dword v152, off, s[60:63], 0 offset:328
	buffer_load_dword v153, off, s[60:63], 0 offset:332
	;; [unrolled: 1-line block ×4, first 2 shown]
	v_add_f64 v[6:7], v[154:155], v[6:7]
	v_mul_f64 v[154:155], v[245:246], s[2:3]
	v_add_f64 v[168:169], v[134:135], v[168:169]
	v_add_f64 v[158:159], v[134:135], v[158:159]
	;; [unrolled: 1-line block ×5, first 2 shown]
	v_mul_f64 v[148:149], v[232:233], s[44:45]
	v_add_f64 v[6:7], v[146:147], v[6:7]
	v_mul_f64 v[146:147], v[232:233], s[8:9]
	v_add_f64 v[148:149], v[216:217], -v[148:149]
	v_fma_f64 v[216:217], v[245:246], s[26:27], -v[178:179]
	v_fma_f64 v[178:179], v[245:246], s[26:27], v[178:179]
	v_add_f64 v[4:5], v[4:5], -v[146:147]
	v_mul_f64 v[146:147], v[245:246], s[20:21]
	v_add_f64 v[148:149], v[134:135], v[148:149]
	v_add_f64 v[216:217], v[132:133], v[216:217]
	;; [unrolled: 1-line block ×4, first 2 shown]
	v_fma_f64 v[234:235], v[245:246], s[40:41], -v[182:183]
	v_fma_f64 v[182:183], v[245:246], s[40:41], v[182:183]
	v_add_f64 v[146:147], v[132:133], v[146:147]
	v_add_f64 v[182:183], v[132:133], v[182:183]
	s_waitcnt vmcnt(2)
	v_add_f64 v[150:151], v[152:153], -v[150:151]
	s_waitcnt vmcnt(0)
	v_add_f64 v[154:155], v[154:155], v[156:157]
	v_mul_f64 v[156:157], v[232:233], s[22:23]
	v_mul_f64 v[152:153], v[245:246], s[28:29]
	v_fma_f64 v[232:233], v[245:246], s[18:19], -v[180:181]
	v_fma_f64 v[180:181], v[245:246], s[18:19], v[180:181]
	v_add_f64 v[150:151], v[134:135], v[150:151]
	v_fma_f64 v[166:167], v[202:203], s[24:25], v[156:157]
	v_fma_f64 v[156:157], v[202:203], s[24:25], -v[156:157]
	v_mul_f64 v[202:203], v[249:250], s[56:57]
	v_add_f64 v[152:153], v[152:153], v[214:215]
	v_fma_f64 v[214:215], v[245:246], s[24:25], -v[176:177]
	v_fma_f64 v[176:177], v[245:246], s[24:25], v[176:177]
	v_add_f64 v[232:233], v[132:133], v[232:233]
	v_add_f64 v[180:181], v[132:133], v[180:181]
	;; [unrolled: 1-line block ×4, first 2 shown]
	v_fma_f64 v[249:250], v[245:246], s[30:31], -v[202:203]
	v_fma_f64 v[202:203], v[245:246], s[30:31], v[202:203]
	v_add_f64 v[245:246], v[134:135], v[4:5]
	v_add_f64 v[4:5], v[132:133], v[154:155]
	;; [unrolled: 1-line block ×5, first 2 shown]
	v_mov_b32_e32 v155, v9
	v_mov_b32_e32 v154, v8
	buffer_store_dword v4, off, s[60:63], 0 offset:424 ; 4-byte Folded Spill
	buffer_store_dword v5, off, s[60:63], 0 offset:428 ; 4-byte Folded Spill
	v_add_f64 v[4:5], v[132:133], v[234:235]
	v_add_f64 v[249:250], v[132:133], v[249:250]
	;; [unrolled: 1-line block ×3, first 2 shown]
	v_mov_b32_e32 v235, v23
	v_mov_b32_e32 v234, v22
	buffer_store_dword v4, off, s[60:63], 0 offset:416 ; 4-byte Folded Spill
	buffer_store_dword v5, off, s[60:63], 0 offset:420 ; 4-byte Folded Spill
	v_add_f64 v[4:5], v[142:143], v[6:7]
	v_add_f64 v[6:7], v[140:141], v[144:145]
	v_mul_f64 v[140:141], v[198:199], s[42:43]
	v_mul_f64 v[144:145], v[208:209], s[50:51]
	;; [unrolled: 1-line block ×3, first 2 shown]
	buffer_store_dword v108, off, s[60:63], 0 offset:208 ; 4-byte Folded Spill
	buffer_store_dword v109, off, s[60:63], 0 offset:212 ; 4-byte Folded Spill
	;; [unrolled: 1-line block ×8, first 2 shown]
	v_mov_b32_e32 v32, v116
	v_mov_b32_e32 v33, v117
	;; [unrolled: 1-line block ×10, first 2 shown]
	v_mul_f64 v[12:13], v[226:227], s[10:11]
	v_mov_b32_e32 v111, v3
	v_mov_b32_e32 v110, v2
	;; [unrolled: 1-line block ×6, first 2 shown]
	v_fma_f64 v[132:133], v[188:189], s[40:41], v[140:141]
	v_mov_b32_e32 v0, v16
	v_fma_f64 v[134:135], v[186:187], s[40:41], -v[142:143]
	v_mov_b32_e32 v3, v11
	v_mul_f64 v[10:11], v[204:205], s[48:49]
	v_mov_b32_e32 v118, v14
	v_mov_b32_e32 v1, v17
	v_mul_f64 v[16:17], v[239:240], s[38:39]
	buffer_store_dword v36, off, s[60:63], 0 offset:408 ; 4-byte Folded Spill
	buffer_store_dword v37, off, s[60:63], 0 offset:412 ; 4-byte Folded Spill
	buffer_store_dword v38, off, s[60:63], 0 offset:392 ; 4-byte Folded Spill
	buffer_store_dword v39, off, s[60:63], 0 offset:396 ; 4-byte Folded Spill
	v_mov_b32_e32 v37, v19
	v_mov_b32_e32 v39, v21
	;; [unrolled: 1-line block ×4, first 2 shown]
	v_mul_f64 v[20:21], v[196:197], s[56:57]
	v_fma_f64 v[14:15], v[224:225], s[18:19], v[12:13]
	buffer_store_dword v24, off, s[60:63], 0 offset:432 ; 4-byte Folded Spill
	buffer_store_dword v25, off, s[60:63], 0 offset:436 ; 4-byte Folded Spill
	v_mul_f64 v[24:25], v[218:219], s[58:59]
	buffer_store_dword v26, off, s[60:63], 0 offset:440 ; 4-byte Folded Spill
	buffer_store_dword v27, off, s[60:63], 0 offset:444 ; 4-byte Folded Spill
	v_add_f64 v[4:5], v[138:139], v[4:5]
	v_add_f64 v[6:7], v[136:137], v[6:7]
	v_fma_f64 v[136:137], v[186:187], s[40:41], v[142:143]
	v_add_f64 v[132:133], v[132:133], v[166:167]
	v_fma_f64 v[166:167], v[194:195], s[26:27], v[144:145]
	v_add_f64 v[134:135], v[134:135], v[214:215]
	v_fma_f64 v[138:139], v[194:195], s[26:27], -v[144:145]
	v_fma_f64 v[12:13], v[224:225], s[18:19], -v[12:13]
	v_fma_f64 v[18:19], v[237:238], s[28:29], v[16:17]
	v_fma_f64 v[22:23], v[247:248], s[30:31], v[20:21]
	;; [unrolled: 1-line block ×3, first 2 shown]
	v_add_f64 v[136:137], v[136:137], v[176:177]
	v_mul_f64 v[176:177], v[184:185], s[16:17]
	v_add_f64 v[132:133], v[166:167], v[132:133]
	v_mul_f64 v[166:167], v[190:191], s[50:51]
	v_fma_f64 v[214:215], v[192:193], s[26:27], -v[166:167]
	v_add_f64 v[134:135], v[214:215], v[134:135]
	v_mul_f64 v[214:215], v[212:213], s[48:49]
	v_fma_f64 v[8:9], v[210:211], s[2:3], v[214:215]
	v_add_f64 v[8:9], v[8:9], v[132:133]
	v_fma_f64 v[132:133], v[206:207], s[2:3], -v[10:11]
	v_fma_f64 v[10:11], v[206:207], s[2:3], v[10:11]
	v_add_f64 v[8:9], v[14:15], v[8:9]
	v_mul_f64 v[14:15], v[220:221], s[10:11]
	v_add_f64 v[132:133], v[132:133], v[134:135]
	v_add_f64 v[8:9], v[18:19], v[8:9]
	v_fma_f64 v[134:135], v[222:223], s[18:19], -v[14:15]
	v_mul_f64 v[18:19], v[230:231], s[38:39]
	v_fma_f64 v[14:15], v[222:223], s[18:19], v[14:15]
	v_add_f64 v[8:9], v[22:23], v[8:9]
	v_add_f64 v[132:133], v[134:135], v[132:133]
	v_fma_f64 v[134:135], v[228:229], s[28:29], -v[18:19]
	v_mul_f64 v[22:23], v[251:252], s[56:57]
	v_add_f64 v[132:133], v[134:135], v[132:133]
	v_fma_f64 v[134:135], v[241:242], s[30:31], -v[22:23]
	v_add_f64 v[132:133], v[134:135], v[132:133]
	v_add_f64 v[134:135], v[26:27], v[8:9]
	v_mul_f64 v[8:9], v[200:201], s[58:59]
	v_fma_f64 v[26:27], v[243:244], s[20:21], -v[8:9]
	v_fma_f64 v[8:9], v[243:244], s[20:21], v[8:9]
	v_add_f64 v[132:133], v[26:27], v[132:133]
	v_fma_f64 v[26:27], v[188:189], s[40:41], -v[140:141]
	v_add_f64 v[26:27], v[26:27], v[156:157]
	v_mul_f64 v[156:157], v[218:219], s[56:57]
	v_add_f64 v[26:27], v[138:139], v[26:27]
	v_fma_f64 v[138:139], v[192:193], s[26:27], v[166:167]
	v_mul_f64 v[166:167], v[200:201], s[56:57]
	v_add_f64 v[136:137], v[138:139], v[136:137]
	v_fma_f64 v[138:139], v[210:211], s[2:3], -v[214:215]
	v_add_f64 v[10:11], v[10:11], v[136:137]
	v_add_f64 v[26:27], v[138:139], v[26:27]
	;; [unrolled: 1-line block ×4, first 2 shown]
	v_fma_f64 v[14:15], v[237:238], s[28:29], -v[16:17]
	v_mul_f64 v[16:17], v[208:209], s[8:9]
	v_add_f64 v[12:13], v[14:15], v[12:13]
	v_fma_f64 v[14:15], v[228:229], s[28:29], v[18:19]
	v_fma_f64 v[18:19], v[194:195], s[20:21], v[16:17]
	v_fma_f64 v[16:17], v[194:195], s[20:21], -v[16:17]
	v_add_f64 v[10:11], v[14:15], v[10:11]
	v_fma_f64 v[14:15], v[247:248], s[30:31], -v[20:21]
	v_add_f64 v[12:13], v[14:15], v[12:13]
	v_fma_f64 v[14:15], v[241:242], s[30:31], v[22:23]
	v_add_f64 v[10:11], v[14:15], v[10:11]
	v_fma_f64 v[14:15], v[253:254], s[20:21], -v[24:25]
	v_add_f64 v[136:137], v[8:9], v[10:11]
	v_add_f64 v[138:139], v[14:15], v[12:13]
	v_mul_f64 v[12:13], v[198:199], s[38:39]
	v_add_f64 v[8:9], v[130:131], v[4:5]
	v_mul_f64 v[14:15], v[184:185], s[38:39]
	v_add_f64 v[10:11], v[128:129], v[6:7]
	v_fma_f64 v[4:5], v[188:189], s[28:29], v[12:13]
	v_fma_f64 v[12:13], v[188:189], s[28:29], -v[12:13]
	v_fma_f64 v[6:7], v[186:187], s[28:29], -v[14:15]
	v_fma_f64 v[14:15], v[186:187], s[28:29], v[14:15]
	v_add_f64 v[8:9], v[126:127], v[8:9]
	v_add_f64 v[10:11], v[124:125], v[10:11]
	;; [unrolled: 1-line block ×8, first 2 shown]
	v_fma_f64 v[178:179], v[186:187], s[2:3], v[176:177]
	v_fma_f64 v[176:177], v[186:187], s[2:3], -v[176:177]
	v_mul_f64 v[168:169], v[192:193], s[24:25]
	v_add_f64 v[4:5], v[18:19], v[4:5]
	v_mul_f64 v[18:19], v[190:191], s[8:9]
	v_add_f64 v[12:13], v[16:17], v[12:13]
	v_fma_f64 v[20:21], v[192:193], s[20:21], -v[18:19]
	v_fma_f64 v[16:17], v[192:193], s[20:21], v[18:19]
	v_fma_f64 v[18:19], v[243:244], s[30:31], v[166:167]
	v_add_f64 v[6:7], v[20:21], v[6:7]
	v_mul_f64 v[20:21], v[212:213], s[54:55]
	v_add_f64 v[14:15], v[16:17], v[14:15]
	v_fma_f64 v[22:23], v[210:211], s[18:19], v[20:21]
	v_fma_f64 v[16:17], v[210:211], s[18:19], -v[20:21]
	v_mul_f64 v[20:21], v[198:199], s[36:37]
	v_add_f64 v[4:5], v[22:23], v[4:5]
	v_mul_f64 v[22:23], v[204:205], s[54:55]
	v_add_f64 v[12:13], v[16:17], v[12:13]
	v_fma_f64 v[24:25], v[206:207], s[18:19], -v[22:23]
	v_fma_f64 v[16:17], v[206:207], s[18:19], v[22:23]
	v_fma_f64 v[22:23], v[188:189], s[26:27], v[20:21]
	v_fma_f64 v[20:21], v[188:189], s[26:27], -v[20:21]
	v_add_f64 v[6:7], v[24:25], v[6:7]
	v_mul_f64 v[24:25], v[226:227], s[46:47]
	v_add_f64 v[14:15], v[16:17], v[14:15]
	v_add_f64 v[22:23], v[22:23], v[174:175]
	;; [unrolled: 1-line block ×3, first 2 shown]
	v_mul_f64 v[174:175], v[212:213], s[22:23]
	v_mul_f64 v[164:165], v[186:187], s[18:19]
	v_fma_f64 v[26:27], v[224:225], s[40:41], v[24:25]
	v_fma_f64 v[16:17], v[224:225], s[40:41], -v[24:25]
	v_mul_f64 v[24:25], v[208:209], s[46:47]
	v_add_f64 v[174:175], v[0:1], -v[174:175]
	v_add_f64 v[4:5], v[26:27], v[4:5]
	v_mul_f64 v[26:27], v[220:221], s[46:47]
	v_add_f64 v[12:13], v[16:17], v[12:13]
	v_fma_f64 v[128:129], v[222:223], s[40:41], -v[26:27]
	v_fma_f64 v[16:17], v[222:223], s[40:41], v[26:27]
	v_fma_f64 v[26:27], v[194:195], s[40:41], v[24:25]
	v_fma_f64 v[24:25], v[194:195], s[40:41], -v[24:25]
	v_add_f64 v[6:7], v[128:129], v[6:7]
	v_mul_f64 v[128:129], v[239:240], s[22:23]
	v_add_f64 v[14:15], v[16:17], v[14:15]
	v_fma_f64 v[130:131], v[237:238], s[24:25], v[128:129]
	v_fma_f64 v[16:17], v[237:238], s[24:25], -v[128:129]
	v_add_f64 v[4:5], v[130:131], v[4:5]
	v_mul_f64 v[130:131], v[230:231], s[22:23]
	v_add_f64 v[12:13], v[16:17], v[12:13]
	v_fma_f64 v[140:141], v[228:229], s[24:25], -v[130:131]
	v_fma_f64 v[16:17], v[228:229], s[24:25], v[130:131]
	v_add_f64 v[6:7], v[140:141], v[6:7]
	v_mul_f64 v[140:141], v[196:197], s[48:49]
	v_add_f64 v[14:15], v[16:17], v[14:15]
	v_fma_f64 v[142:143], v[247:248], s[2:3], v[140:141]
	v_fma_f64 v[16:17], v[247:248], s[2:3], -v[140:141]
	v_add_f64 v[4:5], v[142:143], v[4:5]
	v_mul_f64 v[142:143], v[251:252], s[48:49]
	v_add_f64 v[12:13], v[16:17], v[12:13]
	v_fma_f64 v[16:17], v[241:242], s[2:3], v[142:143]
	v_fma_f64 v[144:145], v[241:242], s[2:3], -v[142:143]
	v_mul_f64 v[142:143], v[190:191], s[48:49]
	v_add_f64 v[14:15], v[16:17], v[14:15]
	v_fma_f64 v[16:17], v[253:254], s[30:31], -v[156:157]
	v_add_f64 v[144:145], v[144:145], v[6:7]
	v_fma_f64 v[6:7], v[253:254], s[30:31], v[156:157]
	v_add_f64 v[124:125], v[18:19], v[14:15]
	v_add_f64 v[126:127], v[16:17], v[12:13]
	v_mul_f64 v[12:13], v[198:199], s[34:35]
	v_mul_f64 v[16:17], v[184:185], s[34:35]
	v_add_f64 v[6:7], v[6:7], v[4:5]
	v_fma_f64 v[4:5], v[243:244], s[30:31], -v[166:167]
	v_mul_f64 v[166:167], v[208:209], s[10:11]
	v_fma_f64 v[14:15], v[188:189], s[30:31], v[12:13]
	v_fma_f64 v[12:13], v[188:189], s[30:31], -v[12:13]
	v_fma_f64 v[18:19], v[186:187], s[30:31], -v[16:17]
	v_fma_f64 v[16:17], v[186:187], s[30:31], v[16:17]
	v_add_f64 v[4:5], v[4:5], v[144:145]
	v_fma_f64 v[144:145], v[192:193], s[2:3], -v[142:143]
	v_add_f64 v[166:167], v[36:37], -v[166:167]
	v_add_f64 v[14:15], v[14:15], v[170:171]
	v_add_f64 v[12:13], v[12:13], v[160:161]
	;; [unrolled: 1-line block ×4, first 2 shown]
	v_mul_f64 v[160:161], v[212:213], s[34:35]
	v_add_f64 v[14:15], v[26:27], v[14:15]
	v_mul_f64 v[26:27], v[190:191], s[46:47]
	v_add_f64 v[12:13], v[24:25], v[12:13]
	v_fma_f64 v[24:25], v[192:193], s[40:41], v[26:27]
	v_fma_f64 v[120:121], v[192:193], s[40:41], -v[26:27]
	v_add_f64 v[16:17], v[24:25], v[16:17]
	v_mul_f64 v[24:25], v[208:209], s[48:49]
	v_add_f64 v[18:19], v[120:121], v[18:19]
	v_fma_f64 v[26:27], v[194:195], s[2:3], v[24:25]
	v_fma_f64 v[24:25], v[194:195], s[2:3], -v[24:25]
	;; [unrolled: 5-line block ×5, first 2 shown]
	v_add_f64 v[22:23], v[120:121], v[22:23]
	v_mul_f64 v[120:121], v[226:227], s[58:59]
	v_add_f64 v[20:21], v[26:27], v[20:21]
	v_fma_f64 v[26:27], v[192:193], s[2:3], v[142:143]
	v_fma_f64 v[122:123], v[224:225], s[20:21], v[120:121]
	v_fma_f64 v[120:121], v[224:225], s[20:21], -v[120:121]
	v_add_f64 v[14:15], v[122:123], v[14:15]
	v_mul_f64 v[122:123], v[220:221], s[58:59]
	v_add_f64 v[12:13], v[120:121], v[12:13]
	v_fma_f64 v[120:121], v[222:223], s[20:21], v[122:123]
	v_fma_f64 v[128:129], v[222:223], s[20:21], -v[122:123]
	v_add_f64 v[16:17], v[120:121], v[16:17]
	v_mul_f64 v[120:121], v[239:240], s[16:17]
	v_add_f64 v[18:19], v[128:129], v[18:19]
	;; [unrolled: 5-line block ×3, first 2 shown]
	v_mul_f64 v[120:121], v[196:197], s[22:23]
	v_fma_f64 v[128:129], v[228:229], s[2:3], -v[122:123]
	v_fma_f64 v[122:123], v[228:229], s[2:3], v[122:123]
	v_add_f64 v[18:19], v[128:129], v[18:19]
	v_fma_f64 v[128:129], v[247:248], s[24:25], v[120:121]
	v_fma_f64 v[120:121], v[247:248], s[24:25], -v[120:121]
	v_add_f64 v[16:17], v[122:123], v[16:17]
	v_mul_f64 v[122:123], v[239:240], s[50:51]
	v_add_f64 v[14:15], v[128:129], v[14:15]
	v_mul_f64 v[128:129], v[251:252], s[22:23]
	v_add_f64 v[12:13], v[120:121], v[12:13]
	v_mul_f64 v[120:121], v[226:227], s[22:23]
	v_fma_f64 v[130:131], v[241:242], s[24:25], -v[128:129]
	v_fma_f64 v[128:129], v[241:242], s[24:25], v[128:129]
	v_add_f64 v[18:19], v[130:131], v[18:19]
	v_fma_f64 v[130:131], v[224:225], s[24:25], v[120:121]
	v_fma_f64 v[120:121], v[224:225], s[24:25], -v[120:121]
	v_add_f64 v[16:17], v[128:129], v[16:17]
	v_add_f64 v[22:23], v[130:131], v[22:23]
	v_mul_f64 v[130:131], v[184:185], s[36:37]
	v_add_f64 v[20:21], v[120:121], v[20:21]
	v_mul_f64 v[184:185], v[243:244], s[40:41]
	v_fma_f64 v[140:141], v[186:187], s[26:27], -v[130:131]
	v_fma_f64 v[24:25], v[186:187], s[26:27], v[130:131]
	v_mul_f64 v[130:131], v[198:199], s[22:23]
	v_add_f64 v[140:141], v[140:141], v[249:250]
	v_add_f64 v[24:25], v[24:25], v[202:203]
	;; [unrolled: 1-line block ×3, first 2 shown]
	v_mul_f64 v[144:145], v[204:205], s[44:45]
	v_add_f64 v[24:25], v[26:27], v[24:25]
	v_mul_f64 v[26:27], v[212:213], s[42:43]
	v_fma_f64 v[156:157], v[206:207], s[28:29], -v[144:145]
	v_fma_f64 v[120:121], v[206:207], s[28:29], v[144:145]
	v_add_f64 v[140:141], v[156:157], v[140:141]
	s_clause 0x5
	buffer_load_dword v156, off, s[60:63], 0 offset:368
	buffer_load_dword v157, off, s[60:63], 0 offset:372
	;; [unrolled: 1-line block ×6, first 2 shown]
	v_add_f64 v[24:25], v[120:121], v[24:25]
	s_clause 0x1
	buffer_load_dword v144, off, s[60:63], 0 offset:360
	buffer_load_dword v145, off, s[60:63], 0 offset:364
	v_mul_f64 v[120:121], v[226:227], s[44:45]
	s_waitcnt vmcnt(6)
	v_add_f64 v[130:131], v[156:157], -v[130:131]
	v_mul_f64 v[156:157], v[208:209], s[34:35]
	s_waitcnt vmcnt(2)
	v_add_f64 v[26:27], v[142:143], -v[26:27]
	;; [unrolled: 3-line block ×3, first 2 shown]
	v_add_f64 v[130:131], v[130:131], v[245:246]
	v_add_f64 v[156:157], v[158:159], -v[156:157]
	v_add_f64 v[130:131], v[156:157], v[130:131]
	v_fma_f64 v[156:157], v[222:223], s[24:25], -v[142:143]
	v_fma_f64 v[142:143], v[222:223], s[24:25], v[142:143]
	v_add_f64 v[26:27], v[26:27], v[130:131]
	v_add_f64 v[140:141], v[156:157], v[140:141]
	s_clause 0x1
	buffer_load_dword v156, off, s[60:63], 0 offset:336
	buffer_load_dword v157, off, s[60:63], 0 offset:340
	v_add_f64 v[24:25], v[142:143], v[24:25]
	s_clause 0x1
	buffer_load_dword v142, off, s[60:63], 0 offset:352
	buffer_load_dword v143, off, s[60:63], 0 offset:356
	v_mul_f64 v[130:131], v[239:240], s[58:59]
	v_add_f64 v[26:27], v[120:121], v[26:27]
	v_fma_f64 v[144:145], v[237:238], s[20:21], -v[130:131]
	v_fma_f64 v[120:121], v[237:238], s[20:21], v[130:131]
	v_add_f64 v[20:21], v[144:145], v[20:21]
	v_mul_f64 v[144:145], v[186:187], s[24:25]
	v_add_f64 v[22:23], v[120:121], v[22:23]
	v_mul_f64 v[120:121], v[230:231], s[58:59]
	v_fma_f64 v[130:131], v[228:229], s[20:21], -v[120:121]
	v_fma_f64 v[120:121], v[228:229], s[20:21], v[120:121]
	v_add_f64 v[130:131], v[130:131], v[140:141]
	v_mul_f64 v[140:141], v[198:199], s[10:11]
	v_add_f64 v[24:25], v[120:121], v[24:25]
	v_mul_f64 v[120:121], v[196:197], s[54:55]
	s_waitcnt vmcnt(2)
	v_add_f64 v[144:145], v[144:145], v[156:157]
	s_waitcnt vmcnt(0)
	v_add_f64 v[122:123], v[142:143], -v[122:123]
	s_clause 0x3
	buffer_load_dword v142, off, s[60:63], 0 offset:296
	buffer_load_dword v143, off, s[60:63], 0 offset:300
	buffer_load_dword v156, off, s[60:63], 0 offset:312
	buffer_load_dword v157, off, s[60:63], 0 offset:316
	v_add_f64 v[144:145], v[144:145], v[146:147]
	v_mul_f64 v[146:147], v[196:197], s[46:47]
	v_add_f64 v[26:27], v[122:123], v[26:27]
	v_mul_f64 v[122:123], v[222:223], s[28:29]
	s_waitcnt vmcnt(2)
	v_add_f64 v[140:141], v[142:143], -v[140:141]
	v_mul_f64 v[142:143], v[192:193], s[30:31]
	v_add_f64 v[140:141], v[140:141], v[148:149]
	s_waitcnt vmcnt(0)
	v_add_f64 v[142:143], v[142:143], v[156:157]
	v_fma_f64 v[156:157], v[247:248], s[40:41], -v[146:147]
	v_mul_f64 v[148:149], v[206:207], s[40:41]
	v_fma_f64 v[146:147], v[247:248], s[40:41], v[146:147]
	v_add_f64 v[142:143], v[142:143], v[144:145]
	v_add_f64 v[20:21], v[156:157], v[20:21]
	s_clause 0x1
	buffer_load_dword v156, off, s[60:63], 0 offset:344
	buffer_load_dword v157, off, s[60:63], 0 offset:348
	v_mul_f64 v[144:145], v[198:199], s[8:9]
	v_add_f64 v[22:23], v[146:147], v[22:23]
	v_add_f64 v[144:145], v[112:113], -v[144:145]
	v_mov_b32_e32 v112, v114
	v_mov_b32_e32 v113, v115
	;; [unrolled: 1-line block ×4, first 2 shown]
	v_add_f64 v[144:145], v[144:145], v[150:151]
	v_mul_f64 v[150:151], v[186:187], s[20:21]
	v_add_f64 v[144:145], v[166:167], v[144:145]
	v_add_f64 v[150:151], v[150:151], v[2:3]
	v_mul_f64 v[166:167], v[192:193], s[18:19]
	v_add_f64 v[144:145], v[174:175], v[144:145]
	v_mul_f64 v[174:175], v[212:213], s[8:9]
	v_add_f64 v[166:167], v[166:167], v[154:155]
	v_add_f64 v[154:155], v[178:179], v[182:183]
	v_mul_f64 v[178:179], v[208:209], s[44:45]
	v_fma_f64 v[180:181], v[194:195], s[28:29], -v[178:179]
	v_fma_f64 v[178:179], v[194:195], s[28:29], v[178:179]
	v_mul_f64 v[194:195], v[200:201], s[10:11]
	v_fma_f64 v[128:129], v[243:244], s[18:19], v[194:195]
	v_fma_f64 v[194:195], v[243:244], s[18:19], -v[194:195]
	s_waitcnt vmcnt(0)
	v_add_f64 v[120:121], v[156:157], -v[120:121]
	s_clause 0x3
	buffer_load_dword v156, off, s[60:63], 0 offset:320
	buffer_load_dword v157, off, s[60:63], 0 offset:324
	;; [unrolled: 1-line block ×4, first 2 shown]
	v_add_f64 v[26:27], v[120:121], v[26:27]
	v_mul_f64 v[120:121], v[243:244], s[2:3]
	s_waitcnt vmcnt(2)
	v_add_f64 v[122:123], v[122:123], v[156:157]
	v_mul_f64 v[156:157], v[208:209], s[52:53]
	s_waitcnt vmcnt(0)
	v_add_f64 v[156:157], v[158:159], -v[156:157]
	s_clause 0x3
	buffer_load_dword v158, off, s[60:63], 0 offset:304
	buffer_load_dword v159, off, s[60:63], 0 offset:308
	;; [unrolled: 1-line block ×4, first 2 shown]
	v_add_f64 v[140:141], v[156:157], v[140:141]
	v_mul_f64 v[156:157], v[206:207], s[30:31]
	s_waitcnt vmcnt(2)
	v_add_f64 v[148:149], v[148:149], v[158:159]
	v_mul_f64 v[158:159], v[226:227], s[48:49]
	v_add_f64 v[142:143], v[148:149], v[142:143]
	s_waitcnt vmcnt(0)
	v_add_f64 v[158:159], v[116:117], -v[158:159]
	s_clause 0x1
	buffer_load_dword v116, off, s[60:63], 0 offset:264
	buffer_load_dword v117, off, s[60:63], 0 offset:268
	v_mul_f64 v[148:149], v[228:229], s[26:27]
	v_add_f64 v[122:123], v[122:123], v[142:143]
	v_mul_f64 v[142:143], v[241:242], s[18:19]
	s_waitcnt vmcnt(0)
	v_add_f64 v[160:161], v[116:117], -v[160:161]
	s_clause 0x1
	buffer_load_dword v116, off, s[60:63], 0 offset:256
	buffer_load_dword v117, off, s[60:63], 0 offset:260
	v_add_f64 v[140:141], v[160:161], v[140:141]
	v_mul_f64 v[160:161], v[222:223], s[2:3]
	v_add_f64 v[140:141], v[158:159], v[140:141]
	v_mul_f64 v[158:159], v[228:229], s[40:41]
	s_waitcnt vmcnt(0)
	v_add_f64 v[156:157], v[156:157], v[116:117]
	s_clause 0x5
	buffer_load_dword v116, off, s[60:63], 0 offset:224
	buffer_load_dword v117, off, s[60:63], 0 offset:228
	buffer_load_dword v2, off, s[60:63], 0 offset:232
	buffer_load_dword v3, off, s[60:63], 0 offset:236
	buffer_load_dword v0, off, s[60:63], 0 offset:424
	buffer_load_dword v1, off, s[60:63], 0 offset:428
	s_waitcnt vmcnt(4)
	v_add_f64 v[164:165], v[164:165], v[116:117]
	s_waitcnt vmcnt(2)
	v_add_f64 v[168:169], v[168:169], v[2:3]
	s_waitcnt vmcnt(0)
	v_add_f64 v[150:151], v[150:151], v[0:1]
	s_clause 0x1
	buffer_load_dword v0, off, s[60:63], 0 offset:416
	buffer_load_dword v1, off, s[60:63], 0 offset:420
	v_add_f64 v[2:3], v[110:111], v[8:9]
	v_mov_b32_e32 v9, 4
	v_add_f64 v[152:153], v[164:165], v[152:153]
	v_mul_f64 v[164:165], v[198:199], s[16:17]
	v_add_f64 v[150:151], v[166:167], v[150:151]
	v_mul_f64 v[166:167], v[226:227], s[36:37]
	v_add_f64 v[152:153], v[168:169], v[152:153]
	v_fma_f64 v[170:171], v[188:189], s[2:3], -v[164:165]
	v_mul_f64 v[168:169], v[222:223], s[26:27]
	v_add_f64 v[166:167], v[38:39], -v[166:167]
	v_fma_f64 v[164:165], v[188:189], s[2:3], v[164:165]
	v_mul_f64 v[188:189], v[218:219], s[38:39]
	v_add_f64 v[152:153], v[156:157], v[152:153]
	v_mul_f64 v[156:157], v[239:240], s[46:47]
	v_add_f64 v[162:163], v[170:171], v[162:163]
	;; [unrolled: 2-line block ×4, first 2 shown]
	v_add_f64 v[164:165], v[164:165], v[172:173]
	v_mul_f64 v[172:173], v[190:191], s[44:45]
	v_mul_f64 v[190:191], v[218:219], s[10:11]
	v_add_f64 v[162:163], v[180:181], v[162:163]
	v_add_f64 v[170:171], v[170:171], v[118:119]
	v_fma_f64 v[180:181], v[210:211], s[20:21], -v[174:175]
	v_fma_f64 v[174:175], v[210:211], s[20:21], v[174:175]
	v_mov_b32_e32 v119, v35
	v_add_f64 v[164:165], v[178:179], v[164:165]
	v_fma_f64 v[182:183], v[192:193], s[28:29], v[172:173]
	v_fma_f64 v[172:173], v[192:193], s[28:29], -v[172:173]
	v_mul_f64 v[178:179], v[204:205], s[8:9]
	v_mul_f64 v[192:193], v[218:219], s[22:23]
	v_mov_b32_e32 v118, v34
	v_mov_b32_e32 v117, v33
	;; [unrolled: 1-line block ×3, first 2 shown]
	v_add_f64 v[150:151], v[170:171], v[150:151]
	v_mul_f64 v[170:171], v[239:240], s[34:35]
	v_add_f64 v[162:163], v[180:181], v[162:163]
	v_add_f64 v[164:165], v[174:175], v[164:165]
	;; [unrolled: 1-line block ×3, first 2 shown]
	v_mul_f64 v[174:175], v[220:221], s[56:57]
	v_fma_f64 v[182:183], v[206:207], s[20:21], v[178:179]
	v_fma_f64 v[178:179], v[206:207], s[20:21], -v[178:179]
	v_add_f64 v[150:151], v[168:169], v[150:151]
	v_mul_f64 v[168:169], v[196:197], s[38:39]
	v_add_f64 v[154:155], v[182:183], v[154:155]
	v_fma_f64 v[182:183], v[222:223], s[30:31], v[174:175]
	v_fma_f64 v[174:175], v[222:223], s[30:31], -v[174:175]
	v_add_f64 v[154:155], v[182:183], v[154:155]
	s_waitcnt vmcnt(0)
	v_add_f64 v[176:177], v[176:177], v[0:1]
	s_clause 0x1
	buffer_load_dword v0, off, s[60:63], 0 offset:192
	buffer_load_dword v1, off, s[60:63], 0 offset:196
	v_add_f64 v[172:173], v[172:173], v[176:177]
	v_mul_f64 v[176:177], v[226:227], s[56:57]
	v_add_f64 v[172:173], v[178:179], v[172:173]
	v_fma_f64 v[180:181], v[224:225], s[30:31], -v[176:177]
	v_fma_f64 v[176:177], v[224:225], s[30:31], v[176:177]
	v_mul_f64 v[178:179], v[239:240], s[10:11]
	v_add_f64 v[172:173], v[174:175], v[172:173]
	v_mul_f64 v[174:175], v[218:219], s[42:43]
	v_add_f64 v[164:165], v[176:177], v[164:165]
	;; [unrolled: 2-line block ×3, first 2 shown]
	v_fma_f64 v[180:181], v[237:238], s[18:19], -v[178:179]
	v_fma_f64 v[178:179], v[237:238], s[18:19], v[178:179]
	v_fma_f64 v[182:183], v[228:229], s[18:19], v[176:177]
	v_fma_f64 v[176:177], v[228:229], s[18:19], -v[176:177]
	v_add_f64 v[162:163], v[180:181], v[162:163]
	v_mul_f64 v[180:181], v[196:197], s[50:51]
	v_add_f64 v[164:165], v[178:179], v[164:165]
	v_add_f64 v[154:155], v[182:183], v[154:155]
	v_mul_f64 v[182:183], v[251:252], s[50:51]
	v_add_f64 v[172:173], v[176:177], v[172:173]
	v_mul_f64 v[176:177], v[200:201], s[22:23]
	v_fma_f64 v[186:187], v[241:242], s[26:27], v[182:183]
	v_fma_f64 v[182:183], v[241:242], s[26:27], -v[182:183]
	v_add_f64 v[172:173], v[182:183], v[172:173]
	s_waitcnt vmcnt(0)
	v_add_f64 v[160:161], v[160:161], v[0:1]
	s_clause 0x1
	buffer_load_dword v0, off, s[60:63], 0 offset:280
	buffer_load_dword v1, off, s[60:63], 0 offset:284
	v_add_f64 v[152:153], v[160:161], v[152:153]
	v_mul_f64 v[160:161], v[196:197], s[8:9]
	v_mul_f64 v[196:197], v[200:201], s[38:39]
	v_fma_f64 v[200:201], v[243:244], s[28:29], v[196:197]
	v_fma_f64 v[196:197], v[243:244], s[28:29], -v[196:197]
	s_waitcnt vmcnt(0)
	v_add_f64 v[148:149], v[148:149], v[0:1]
	s_clause 0x1
	buffer_load_dword v0, off, s[60:63], 0 offset:184
	buffer_load_dword v1, off, s[60:63], 0 offset:188
	v_add_f64 v[122:123], v[148:149], v[122:123]
	v_mul_f64 v[148:149], v[218:219], s[48:49]
	s_waitcnt vmcnt(0)
	v_add_f64 v[156:157], v[0:1], -v[156:157]
	s_clause 0x1
	buffer_load_dword v0, off, s[60:63], 0 offset:176
	buffer_load_dword v1, off, s[60:63], 0 offset:180
	v_add_f64 v[140:141], v[156:157], v[140:141]
	v_mul_f64 v[156:157], v[241:242], s[20:21]
	s_waitcnt vmcnt(0)
	v_add_f64 v[158:159], v[158:159], v[0:1]
	s_clause 0x1
	buffer_load_dword v0, off, s[60:63], 0 offset:440
	buffer_load_dword v1, off, s[60:63], 0 offset:444
	v_add_f64 v[152:153], v[158:159], v[152:153]
	v_mul_f64 v[158:159], v[218:219], s[50:51]
	s_waitcnt vmcnt(0)
	v_add_f64 v[170:171], v[0:1], -v[170:171]
	s_clause 0x1
	buffer_load_dword v0, off, s[60:63], 0 offset:432
	buffer_load_dword v1, off, s[60:63], 0 offset:436
	v_add_f64 v[144:145], v[170:171], v[144:145]
	v_mul_f64 v[170:171], v[241:242], s[28:29]
	s_waitcnt vmcnt(0)
	v_add_f64 v[166:167], v[166:167], v[0:1]
	s_clause 0x1
	buffer_load_dword v0, off, s[60:63], 0 offset:248
	buffer_load_dword v1, off, s[60:63], 0 offset:252
	v_add_f64 v[150:151], v[166:167], v[150:151]
	v_mul_f64 v[166:167], v[243:244], s[26:27]
	s_waitcnt vmcnt(0)
	v_add_f64 v[142:143], v[142:143], v[0:1]
	s_clause 0x1
	buffer_load_dword v0, off, s[60:63], 0 offset:168
	buffer_load_dword v1, off, s[60:63], 0 offset:172
	v_add_f64 v[198:199], v[142:143], v[122:123]
	s_waitcnt vmcnt(0)
	v_add_f64 v[160:161], v[0:1], -v[160:161]
	s_clause 0x1
	buffer_load_dword v0, off, s[60:63], 0 offset:160
	buffer_load_dword v1, off, s[60:63], 0 offset:164
	v_add_f64 v[140:141], v[160:161], v[140:141]
	v_mul_f64 v[160:161], v[251:252], s[46:47]
	v_fma_f64 v[178:179], v[241:242], s[40:41], -v[160:161]
	v_fma_f64 v[160:161], v[241:242], s[40:41], v[160:161]
	v_add_f64 v[178:179], v[178:179], v[130:131]
	v_add_f64 v[24:25], v[160:161], v[24:25]
	v_fma_f64 v[160:161], v[243:244], s[24:25], v[176:177]
	v_add_f64 v[128:129], v[128:129], v[24:25]
	s_waitcnt vmcnt(0)
	v_add_f64 v[156:157], v[156:157], v[0:1]
	s_clause 0x1
	buffer_load_dword v0, off, s[60:63], 0 offset:408
	buffer_load_dword v1, off, s[60:63], 0 offset:412
	v_add_f64 v[156:157], v[156:157], v[152:153]
	v_fma_f64 v[152:153], v[253:254], s[24:25], -v[192:193]
	s_waitcnt vmcnt(0)
	v_add_f64 v[168:169], v[0:1], -v[168:169]
	s_clause 0x1
	buffer_load_dword v0, off, s[60:63], 0 offset:400
	buffer_load_dword v1, off, s[60:63], 0 offset:404
	v_add_f64 v[144:145], v[168:169], v[144:145]
	v_fma_f64 v[168:169], v[247:248], s[26:27], -v[180:181]
	v_fma_f64 v[180:181], v[247:248], s[26:27], v[180:181]
	v_add_f64 v[162:163], v[168:169], v[162:163]
	v_add_f64 v[168:169], v[186:187], v[154:155]
	v_fma_f64 v[154:155], v[253:254], s[28:29], -v[188:189]
	v_fma_f64 v[186:187], v[253:254], s[18:19], -v[190:191]
	v_fma_f64 v[188:189], v[253:254], s[28:29], v[188:189]
	v_fma_f64 v[190:191], v[253:254], s[18:19], v[190:191]
	v_add_f64 v[122:123], v[154:155], v[12:13]
	v_add_f64 v[130:131], v[186:187], v[20:21]
	v_fma_f64 v[12:13], v[253:254], s[24:25], v[192:193]
	v_add_f64 v[20:21], v[180:181], v[164:165]
	v_fma_f64 v[164:165], v[243:244], s[24:25], -v[176:177]
	v_add_f64 v[154:155], v[152:153], v[162:163]
	v_add_f64 v[152:153], v[160:161], v[168:169]
	;; [unrolled: 1-line block ×5, first 2 shown]
	s_waitcnt vmcnt(0)
	v_add_f64 v[170:171], v[170:171], v[0:1]
	s_clause 0x1
	buffer_load_dword v0, off, s[60:63], 0 offset:240
	buffer_load_dword v1, off, s[60:63], 0 offset:244
	v_add_f64 v[170:171], v[170:171], v[150:151]
	s_waitcnt vmcnt(0)
	v_add_f64 v[148:149], v[0:1], -v[148:149]
	s_clause 0x1
	buffer_load_dword v0, off, s[60:63], 0 offset:200
	buffer_load_dword v1, off, s[60:63], 0 offset:204
	v_add_f64 v[142:143], v[148:149], v[26:27]
	s_waitcnt vmcnt(0)
	v_add_f64 v[120:121], v[120:121], v[0:1]
	s_clause 0x1
	buffer_load_dword v0, off, s[60:63], 0 offset:152
	buffer_load_dword v1, off, s[60:63], 0 offset:156
	s_waitcnt vmcnt(0)
	v_add_f64 v[158:159], v[0:1], -v[158:159]
	s_clause 0x1
	buffer_load_dword v0, off, s[60:63], 0 offset:144
	buffer_load_dword v1, off, s[60:63], 0 offset:148
	v_add_f64 v[146:147], v[158:159], v[140:141]
	v_add_f64 v[140:141], v[120:121], v[198:199]
	;; [unrolled: 1-line block ×4, first 2 shown]
	s_waitcnt vmcnt(0)
	v_add_f64 v[166:167], v[166:167], v[0:1]
	s_clause 0x1
	buffer_load_dword v0, off, s[60:63], 0 offset:392
	buffer_load_dword v1, off, s[60:63], 0 offset:396
	s_waitcnt vmcnt(0)
	v_add_f64 v[174:175], v[0:1], -v[174:175]
	s_clause 0x1
	buffer_load_dword v0, off, s[60:63], 0 offset:328
	buffer_load_dword v1, off, s[60:63], 0 offset:332
	v_add_f64 v[150:151], v[174:175], v[144:145]
	v_add_f64 v[144:145], v[166:167], v[156:157]
	;; [unrolled: 1-line block ×4, first 2 shown]
	s_waitcnt vmcnt(0)
	v_add_f64 v[184:185], v[184:185], v[0:1]
	v_add_f64 v[0:1], v[108:109], v[10:11]
	s_clause 0x4
	buffer_load_dword v108, off, s[60:63], 0 offset:208
	buffer_load_dword v109, off, s[60:63], 0 offset:212
	;; [unrolled: 1-line block ×4, first 2 shown]
	buffer_load_dword v8, off, s[60:63], 0
	v_add_f64 v[148:149], v[184:185], v[170:171]
	s_waitcnt vmcnt(0)
	v_mul_lo_u16 v8, v8, 17
	v_lshlrev_b32_sdwa v8, v9, v8 dst_sel:DWORD dst_unused:UNUSED_PAD src0_sel:DWORD src1_sel:WORD_0
	ds_write_b128 v8, v[0:3]
	ds_write_b128 v8, v[152:155] offset:16
	ds_write_b128 v8, v[148:151] offset:32
	;; [unrolled: 1-line block ×16, first 2 shown]
.LBB0_17:
	s_or_b32 exec_lo, exec_lo, s1
	s_waitcnt lgkmcnt(0)
	s_waitcnt_vscnt null, 0x0
	s_barrier
	buffer_gl0_inv
	ds_read_b128 v[120:123], v255
	ds_read_b128 v[0:3], v255 offset:2176
	ds_read_b128 v[4:7], v255 offset:4352
	;; [unrolled: 1-line block ×12, first 2 shown]
	s_mov_b32 s22, 0x4267c47c
	s_mov_b32 s16, 0x42a4c3d2
	;; [unrolled: 1-line block ×8, first 2 shown]
	s_waitcnt lgkmcnt(11)
	v_mul_f64 v[8:9], v[90:91], v[2:3]
	s_mov_b32 s3, 0xbfefc445
	s_mov_b32 s29, 0xbfedeba7
	;; [unrolled: 1-line block ×21, first 2 shown]
	v_fma_f64 v[8:9], v[88:89], v[0:1], v[8:9]
	v_mul_f64 v[0:1], v[90:91], v[0:1]
	s_mov_b32 s10, s2
	s_mov_b32 s35, 0x3fedeba7
	;; [unrolled: 1-line block ×7, first 2 shown]
	s_waitcnt lgkmcnt(0)
	s_barrier
	buffer_gl0_inv
	v_fma_f64 v[10:11], v[88:89], v[2:3], -v[0:1]
	v_mul_f64 v[0:1], v[86:87], v[6:7]
	v_add_f64 v[2:3], v[122:123], v[10:11]
	v_fma_f64 v[124:125], v[84:85], v[4:5], v[0:1]
	v_mul_f64 v[0:1], v[86:87], v[4:5]
	v_fma_f64 v[4:5], v[84:85], v[6:7], -v[0:1]
	v_mul_f64 v[0:1], v[82:83], v[128:129]
	v_add_f64 v[2:3], v[2:3], v[4:5]
	v_fma_f64 v[88:89], v[80:81], v[126:127], v[0:1]
	v_mul_f64 v[0:1], v[82:83], v[126:127]
	;; [unrolled: 5-line block ×9, first 2 shown]
	v_add_f64 v[152:153], v[88:89], v[90:91]
	v_fma_f64 v[86:87], v[96:97], v[156:157], -v[0:1]
	v_mul_f64 v[0:1], v[102:103], v[160:161]
	v_add_f64 v[154:155], v[88:89], -v[90:91]
	v_add_f64 v[2:3], v[2:3], v[86:87]
	v_fma_f64 v[92:93], v[100:101], v[158:159], v[0:1]
	v_mul_f64 v[0:1], v[102:103], v[158:159]
	v_fma_f64 v[6:7], v[100:101], v[160:161], -v[0:1]
	v_mul_f64 v[0:1], v[106:107], v[164:165]
	v_add_f64 v[2:3], v[2:3], v[6:7]
	v_fma_f64 v[12:13], v[104:105], v[162:163], v[0:1]
	v_mul_f64 v[0:1], v[106:107], v[162:163]
	v_add_f64 v[94:95], v[8:9], v[12:13]
	v_fma_f64 v[14:15], v[104:105], v[164:165], -v[0:1]
	v_add_f64 v[0:1], v[120:121], v[8:9]
	v_add_f64 v[96:97], v[8:9], -v[12:13]
	v_add_f64 v[100:101], v[10:11], -v[14:15]
	v_add_f64 v[0:1], v[0:1], v[124:125]
	v_add_f64 v[98:99], v[10:11], v[14:15]
	;; [unrolled: 1-line block ×3, first 2 shown]
	v_mul_f64 v[8:9], v[100:101], s[22:23]
	v_add_f64 v[0:1], v[0:1], v[88:89]
	v_mul_f64 v[16:17], v[100:101], s[16:17]
	v_mul_f64 v[24:25], v[100:101], s[2:3]
	;; [unrolled: 1-line block ×9, first 2 shown]
	v_fma_f64 v[10:11], v[94:95], s[24:25], v[8:9]
	v_add_f64 v[0:1], v[0:1], v[80:81]
	v_fma_f64 v[8:9], v[94:95], s[24:25], -v[8:9]
	v_fma_f64 v[18:19], v[94:95], s[18:19], v[16:17]
	v_fma_f64 v[16:17], v[94:95], s[18:19], -v[16:17]
	v_fma_f64 v[26:27], v[94:95], s[8:9], v[24:25]
	;; [unrolled: 2-line block ×5, first 2 shown]
	v_fma_f64 v[94:95], v[94:95], s[44:45], -v[100:101]
	v_add_f64 v[100:101], v[4:5], v[6:7]
	v_add_f64 v[4:5], v[4:5], -v[6:7]
	v_fma_f64 v[22:23], v[96:97], s[20:21], v[20:21]
	v_fma_f64 v[20:21], v[96:97], s[16:17], v[20:21]
	;; [unrolled: 1-line block ×8, first 2 shown]
	v_add_f64 v[0:1], v[0:1], v[76:77]
	v_add_f64 v[10:11], v[120:121], v[10:11]
	;; [unrolled: 1-line block ×13, first 2 shown]
	v_mul_f64 v[6:7], v[4:5], s[16:17]
	v_add_f64 v[22:23], v[122:123], v[22:23]
	v_add_f64 v[20:21], v[122:123], v[20:21]
	;; [unrolled: 1-line block ×15, first 2 shown]
	v_mul_f64 v[12:13], v[98:99], s[24:25]
	v_mul_f64 v[98:99], v[98:99], s[44:45]
	v_fma_f64 v[14:15], v[96:97], s[26:27], v[12:13]
	v_fma_f64 v[12:13], v[96:97], s[22:23], v[12:13]
	v_fma_f64 v[142:143], v[96:97], s[46:47], v[98:99]
	v_fma_f64 v[96:97], v[96:97], s[42:43], v[98:99]
	v_add_f64 v[98:99], v[124:125], v[92:93]
	v_add_f64 v[92:93], v[124:125], -v[92:93]
	v_add_f64 v[14:15], v[122:123], v[14:15]
	v_add_f64 v[12:13], v[122:123], v[12:13]
	;; [unrolled: 1-line block ×4, first 2 shown]
	v_fma_f64 v[120:121], v[98:99], s[18:19], v[6:7]
	v_fma_f64 v[6:7], v[98:99], s[18:19], -v[6:7]
	v_add_f64 v[10:11], v[120:121], v[10:11]
	v_mul_f64 v[120:121], v[100:101], s[18:19]
	v_add_f64 v[6:7], v[6:7], v[8:9]
	v_fma_f64 v[8:9], v[92:93], s[16:17], v[120:121]
	v_fma_f64 v[122:123], v[92:93], s[20:21], v[120:121]
	v_add_f64 v[8:9], v[8:9], v[12:13]
	v_mul_f64 v[12:13], v[4:5], s[28:29]
	v_add_f64 v[14:15], v[122:123], v[14:15]
	v_fma_f64 v[120:121], v[98:99], s[30:31], v[12:13]
	v_fma_f64 v[12:13], v[98:99], s[30:31], -v[12:13]
	v_add_f64 v[18:19], v[120:121], v[18:19]
	v_mul_f64 v[120:121], v[100:101], s[30:31]
	v_add_f64 v[12:13], v[12:13], v[16:17]
	v_fma_f64 v[16:17], v[92:93], s[28:29], v[120:121]
	v_fma_f64 v[122:123], v[92:93], s[34:35], v[120:121]
	v_add_f64 v[16:17], v[16:17], v[20:21]
	v_mul_f64 v[20:21], v[4:5], s[42:43]
	v_add_f64 v[22:23], v[122:123], v[22:23]
	;; [unrolled: 10-line block ×3, first 2 shown]
	v_fma_f64 v[120:121], v[98:99], s[38:39], v[102:103]
	v_fma_f64 v[102:103], v[98:99], s[38:39], -v[102:103]
	v_add_f64 v[144:145], v[120:121], v[126:127]
	v_mul_f64 v[120:121], v[100:101], s[38:39]
	v_add_f64 v[146:147], v[102:103], v[106:107]
	v_fma_f64 v[102:103], v[92:93], s[40:41], v[120:121]
	v_fma_f64 v[122:123], v[92:93], s[36:37], v[120:121]
	v_add_f64 v[148:149], v[102:103], v[128:129]
	v_mul_f64 v[102:103], v[4:5], s[10:11]
	v_mul_f64 v[4:5], v[4:5], s[26:27]
	v_add_f64 v[130:131], v[122:123], v[130:131]
	v_fma_f64 v[106:107], v[98:99], s[8:9], v[102:103]
	v_fma_f64 v[102:103], v[98:99], s[8:9], -v[102:103]
	v_add_f64 v[134:135], v[106:107], v[134:135]
	v_mul_f64 v[106:107], v[100:101], s[8:9]
	v_add_f64 v[132:133], v[102:103], v[132:133]
	v_mul_f64 v[100:101], v[100:101], s[24:25]
	v_fma_f64 v[102:103], v[92:93], s[10:11], v[106:107]
	v_fma_f64 v[120:121], v[92:93], s[2:3], v[106:107]
	v_add_f64 v[136:137], v[102:103], v[136:137]
	v_fma_f64 v[102:103], v[98:99], s[24:25], v[4:5]
	v_fma_f64 v[4:5], v[98:99], s[24:25], -v[4:5]
	v_add_f64 v[138:139], v[120:121], v[138:139]
	v_add_f64 v[150:151], v[102:103], v[140:141]
	;; [unrolled: 1-line block ×3, first 2 shown]
	v_fma_f64 v[4:5], v[92:93], s[26:27], v[100:101]
	v_add_f64 v[94:95], v[84:85], -v[86:87]
	v_fma_f64 v[102:103], v[92:93], s[22:23], v[100:101]
	v_add_f64 v[100:101], v[4:5], v[96:97]
	v_mul_f64 v[4:5], v[94:95], s[2:3]
	v_add_f64 v[96:97], v[84:85], v[86:87]
	v_add_f64 v[142:143], v[102:103], v[142:143]
	v_fma_f64 v[84:85], v[152:153], s[8:9], v[4:5]
	v_fma_f64 v[4:5], v[152:153], s[8:9], -v[4:5]
	v_add_f64 v[10:11], v[84:85], v[10:11]
	v_mul_f64 v[84:85], v[96:97], s[8:9]
	v_add_f64 v[156:157], v[4:5], v[6:7]
	v_fma_f64 v[4:5], v[154:155], s[2:3], v[84:85]
	v_fma_f64 v[86:87], v[154:155], s[10:11], v[84:85]
	v_add_f64 v[8:9], v[4:5], v[8:9]
	v_mul_f64 v[4:5], v[94:95], s[42:43]
	v_add_f64 v[14:15], v[86:87], v[14:15]
	v_fma_f64 v[6:7], v[152:153], s[44:45], v[4:5]
	v_fma_f64 v[4:5], v[152:153], s[44:45], -v[4:5]
	v_add_f64 v[140:141], v[6:7], v[18:19]
	v_mul_f64 v[6:7], v[96:97], s[44:45]
	v_add_f64 v[126:127], v[4:5], v[12:13]
	v_fma_f64 v[4:5], v[154:155], s[42:43], v[6:7]
	v_fma_f64 v[18:19], v[154:155], s[46:47], v[6:7]
	v_add_f64 v[128:129], v[4:5], v[16:17]
	v_mul_f64 v[4:5], v[94:95], s[34:35]
	v_add_f64 v[124:125], v[18:19], v[22:23]
	v_fma_f64 v[6:7], v[152:153], s[30:31], v[4:5]
	v_fma_f64 v[4:5], v[152:153], s[30:31], -v[4:5]
	v_add_f64 v[122:123], v[6:7], v[26:27]
	v_mul_f64 v[6:7], v[96:97], s[30:31]
	v_add_f64 v[106:107], v[4:5], v[20:21]
	v_fma_f64 v[12:13], v[154:155], s[28:29], v[6:7]
	v_fma_f64 v[4:5], v[154:155], s[34:35], v[6:7]
	v_mul_f64 v[6:7], v[94:95], s[26:27]
	v_add_f64 v[104:105], v[12:13], v[104:105]
	v_add_f64 v[120:121], v[4:5], v[24:25]
	v_fma_f64 v[4:5], v[152:153], s[24:25], v[6:7]
	v_mul_f64 v[12:13], v[96:97], s[24:25]
	v_fma_f64 v[6:7], v[152:153], s[24:25], -v[6:7]
	v_add_f64 v[102:103], v[4:5], v[144:145]
	v_fma_f64 v[4:5], v[154:155], s[22:23], v[12:13]
	v_fma_f64 v[12:13], v[154:155], s[26:27], v[12:13]
	v_add_f64 v[6:7], v[6:7], v[146:147]
	v_add_f64 v[4:5], v[4:5], v[130:131]
	;; [unrolled: 1-line block ×3, first 2 shown]
	v_mul_f64 v[12:13], v[94:95], s[16:17]
	v_add_f64 v[130:131], v[80:81], v[62:63]
	v_add_f64 v[62:63], v[80:81], -v[62:63]
	v_fma_f64 v[16:17], v[152:153], s[18:19], v[12:13]
	v_fma_f64 v[12:13], v[152:153], s[18:19], -v[12:13]
	v_add_f64 v[86:87], v[16:17], v[134:135]
	v_mul_f64 v[16:17], v[96:97], s[18:19]
	v_add_f64 v[90:91], v[12:13], v[132:133]
	v_add_f64 v[132:133], v[78:79], v[82:83]
	v_add_f64 v[78:79], v[78:79], -v[82:83]
	v_fma_f64 v[12:13], v[154:155], s[16:17], v[16:17]
	v_fma_f64 v[18:19], v[154:155], s[20:21], v[16:17]
	v_mul_f64 v[26:27], v[132:133], s[8:9]
	v_mul_f64 v[22:23], v[78:79], s[2:3]
	v_add_f64 v[92:93], v[12:13], v[136:137]
	v_mul_f64 v[12:13], v[94:95], s[36:37]
	v_add_f64 v[88:89], v[18:19], v[138:139]
	v_fma_f64 v[24:25], v[130:131], s[8:9], v[22:23]
	v_fma_f64 v[22:23], v[130:131], s[8:9], -v[22:23]
	v_fma_f64 v[16:17], v[152:153], s[38:39], v[12:13]
	v_fma_f64 v[12:13], v[152:153], s[38:39], -v[12:13]
	v_add_f64 v[24:25], v[24:25], v[102:103]
	v_fma_f64 v[102:103], v[62:63], s[10:11], v[26:27]
	v_add_f64 v[6:7], v[22:23], v[6:7]
	v_fma_f64 v[22:23], v[62:63], s[2:3], v[26:27]
	v_mul_f64 v[26:27], v[78:79], s[46:47]
	v_add_f64 v[94:95], v[16:17], v[150:151]
	v_mul_f64 v[16:17], v[96:97], s[38:39]
	v_add_f64 v[98:99], v[12:13], v[98:99]
	v_add_f64 v[4:5], v[102:103], v[4:5]
	;; [unrolled: 1-line block ×3, first 2 shown]
	v_fma_f64 v[84:85], v[130:131], s[44:45], v[26:27]
	v_fma_f64 v[26:27], v[130:131], s[44:45], -v[26:27]
	v_fma_f64 v[12:13], v[154:155], s[36:37], v[16:17]
	v_fma_f64 v[18:19], v[154:155], s[40:41], v[16:17]
	v_add_f64 v[84:85], v[84:85], v[86:87]
	v_mul_f64 v[86:87], v[132:133], s[44:45]
	v_add_f64 v[26:27], v[26:27], v[90:91]
	v_add_f64 v[100:101], v[12:13], v[100:101]
	v_mul_f64 v[12:13], v[78:79], s[28:29]
	v_add_f64 v[96:97], v[18:19], v[142:143]
	v_mul_f64 v[18:19], v[132:133], s[24:25]
	v_fma_f64 v[102:103], v[62:63], s[42:43], v[86:87]
	v_fma_f64 v[86:87], v[62:63], s[46:47], v[86:87]
	;; [unrolled: 1-line block ×3, first 2 shown]
	v_fma_f64 v[12:13], v[130:131], s[30:31], -v[12:13]
	v_fma_f64 v[20:21], v[62:63], s[22:23], v[18:19]
	v_fma_f64 v[18:19], v[62:63], s[26:27], v[18:19]
	v_add_f64 v[88:89], v[102:103], v[88:89]
	v_add_f64 v[86:87], v[86:87], v[92:93]
	v_mul_f64 v[92:93], v[132:133], s[18:19]
	v_add_f64 v[82:83], v[16:17], v[10:11]
	v_mul_f64 v[10:11], v[132:133], s[30:31]
	v_add_f64 v[136:137], v[12:13], v[156:157]
	v_add_f64 v[20:21], v[20:21], v[104:105]
	;; [unrolled: 1-line block ×3, first 2 shown]
	v_fma_f64 v[16:17], v[62:63], s[34:35], v[10:11]
	v_fma_f64 v[10:11], v[62:63], s[28:29], v[10:11]
	v_add_f64 v[134:135], v[16:17], v[14:15]
	v_add_f64 v[138:139], v[10:11], v[8:9]
	v_mul_f64 v[8:9], v[78:79], s[40:41]
	v_mul_f64 v[14:15], v[78:79], s[26:27]
	;; [unrolled: 1-line block ×3, first 2 shown]
	v_fma_f64 v[10:11], v[130:131], s[38:39], v[8:9]
	v_fma_f64 v[8:9], v[130:131], s[38:39], -v[8:9]
	v_fma_f64 v[90:91], v[130:131], s[18:19], v[78:79]
	v_fma_f64 v[78:79], v[130:131], s[18:19], -v[78:79]
	;; [unrolled: 2-line block ×3, first 2 shown]
	v_add_f64 v[130:131], v[68:69], -v[64:65]
	v_add_f64 v[80:81], v[10:11], v[140:141]
	v_mul_f64 v[10:11], v[132:133], s[38:39]
	v_add_f64 v[90:91], v[90:91], v[94:95]
	v_fma_f64 v[94:95], v[62:63], s[16:17], v[92:93]
	v_add_f64 v[78:79], v[78:79], v[98:99]
	v_add_f64 v[8:9], v[8:9], v[126:127]
	;; [unrolled: 1-line block ×4, first 2 shown]
	v_fma_f64 v[12:13], v[62:63], s[36:37], v[10:11]
	v_fma_f64 v[10:11], v[62:63], s[40:41], v[10:11]
	v_add_f64 v[94:95], v[94:95], v[96:97]
	v_add_f64 v[96:97], v[74:75], v[60:61]
	v_add_f64 v[60:61], v[74:75], -v[60:61]
	v_fma_f64 v[62:63], v[62:63], s[20:21], v[92:93]
	v_add_f64 v[92:93], v[76:77], v[66:67]
	v_add_f64 v[66:67], v[76:77], -v[66:67]
	v_add_f64 v[12:13], v[12:13], v[124:125]
	v_add_f64 v[10:11], v[10:11], v[128:129]
	;; [unrolled: 1-line block ×3, first 2 shown]
	v_mul_f64 v[74:75], v[60:61], s[36:37]
	v_add_f64 v[62:63], v[62:63], v[100:101]
	v_fma_f64 v[76:77], v[92:93], s[38:39], v[74:75]
	v_fma_f64 v[74:75], v[92:93], s[38:39], -v[74:75]
	v_add_f64 v[76:77], v[76:77], v[82:83]
	v_mul_f64 v[82:83], v[96:97], s[38:39]
	v_add_f64 v[74:75], v[74:75], v[136:137]
	v_fma_f64 v[98:99], v[66:67], s[40:41], v[82:83]
	v_fma_f64 v[82:83], v[66:67], s[36:37], v[82:83]
	v_add_f64 v[98:99], v[98:99], v[134:135]
	v_add_f64 v[100:101], v[82:83], v[138:139]
	v_mul_f64 v[82:83], v[60:61], s[10:11]
	v_fma_f64 v[102:103], v[92:93], s[8:9], v[82:83]
	v_fma_f64 v[82:83], v[92:93], s[8:9], -v[82:83]
	v_add_f64 v[102:103], v[102:103], v[80:81]
	v_mul_f64 v[80:81], v[96:97], s[8:9]
	v_add_f64 v[8:9], v[82:83], v[8:9]
	v_fma_f64 v[104:105], v[66:67], s[2:3], v[80:81]
	v_fma_f64 v[80:81], v[66:67], s[10:11], v[80:81]
	v_add_f64 v[12:13], v[104:105], v[12:13]
	v_add_f64 v[10:11], v[80:81], v[10:11]
	v_mul_f64 v[80:81], v[60:61], s[16:17]
	v_fma_f64 v[82:83], v[92:93], s[18:19], v[80:81]
	v_fma_f64 v[80:81], v[92:93], s[18:19], -v[80:81]
	v_add_f64 v[16:17], v[82:83], v[16:17]
	v_mul_f64 v[82:83], v[96:97], s[18:19]
	v_add_f64 v[14:15], v[80:81], v[14:15]
	v_fma_f64 v[80:81], v[66:67], s[16:17], v[82:83]
	v_fma_f64 v[104:105], v[66:67], s[20:21], v[82:83]
	v_add_f64 v[18:19], v[80:81], v[18:19]
	v_mul_f64 v[80:81], v[60:61], s[46:47]
	v_add_f64 v[20:21], v[104:105], v[20:21]
	v_fma_f64 v[82:83], v[92:93], s[44:45], v[80:81]
	v_add_f64 v[24:25], v[82:83], v[24:25]
	v_mul_f64 v[82:83], v[96:97], s[44:45]
	v_fma_f64 v[104:105], v[66:67], s[42:43], v[82:83]
	v_add_f64 v[104:105], v[104:105], v[4:5]
	v_fma_f64 v[4:5], v[92:93], s[44:45], -v[80:81]
	v_add_f64 v[106:107], v[4:5], v[6:7]
	v_fma_f64 v[4:5], v[66:67], s[46:47], v[82:83]
	v_add_f64 v[82:83], v[72:73], v[70:71]
	v_add_f64 v[22:23], v[4:5], v[22:23]
	v_mul_f64 v[4:5], v[60:61], s[26:27]
	v_fma_f64 v[6:7], v[92:93], s[24:25], v[4:5]
	v_fma_f64 v[4:5], v[92:93], s[24:25], -v[4:5]
	v_add_f64 v[120:121], v[6:7], v[84:85]
	v_mul_f64 v[6:7], v[96:97], s[24:25]
	v_add_f64 v[26:27], v[4:5], v[26:27]
	v_fma_f64 v[4:5], v[66:67], s[26:27], v[6:7]
	v_fma_f64 v[80:81], v[66:67], s[22:23], v[6:7]
	v_add_f64 v[124:125], v[4:5], v[86:87]
	v_mul_f64 v[4:5], v[60:61], s[28:29]
	v_add_f64 v[122:123], v[80:81], v[88:89]
	v_fma_f64 v[6:7], v[92:93], s[30:31], v[4:5]
	v_fma_f64 v[4:5], v[92:93], s[30:31], -v[4:5]
	v_add_f64 v[126:127], v[6:7], v[90:91]
	v_mul_f64 v[6:7], v[96:97], s[30:31]
	v_add_f64 v[80:81], v[4:5], v[78:79]
	v_fma_f64 v[60:61], v[66:67], s[34:35], v[6:7]
	v_fma_f64 v[4:5], v[66:67], s[28:29], v[6:7]
	v_add_f64 v[6:7], v[72:73], -v[70:71]
	v_add_f64 v[84:85], v[60:61], v[94:95]
	v_mul_f64 v[60:61], v[130:131], s[42:43]
	v_add_f64 v[4:5], v[4:5], v[62:63]
	v_fma_f64 v[62:63], v[82:83], s[44:45], v[60:61]
	v_fma_f64 v[60:61], v[82:83], s[44:45], -v[60:61]
	v_add_f64 v[86:87], v[62:63], v[76:77]
	v_mul_f64 v[62:63], v[128:129], s[44:45]
	v_add_f64 v[60:61], v[60:61], v[74:75]
	v_fma_f64 v[64:65], v[6:7], s[46:47], v[62:63]
	v_fma_f64 v[62:63], v[6:7], s[42:43], v[62:63]
	v_add_f64 v[88:89], v[64:65], v[98:99]
	v_mul_f64 v[64:65], v[130:131], s[26:27]
	v_add_f64 v[62:63], v[62:63], v[100:101]
	v_fma_f64 v[66:67], v[82:83], s[24:25], v[64:65]
	v_add_f64 v[90:91], v[66:67], v[102:103]
	v_mul_f64 v[66:67], v[128:129], s[24:25]
	v_fma_f64 v[68:69], v[6:7], s[22:23], v[66:67]
	v_add_f64 v[92:93], v[68:69], v[12:13]
	v_fma_f64 v[12:13], v[82:83], s[24:25], -v[64:65]
	v_add_f64 v[64:65], v[12:13], v[8:9]
	v_fma_f64 v[8:9], v[6:7], s[26:27], v[66:67]
	v_add_f64 v[66:67], v[8:9], v[10:11]
	v_mul_f64 v[8:9], v[130:131], s[36:37]
	v_fma_f64 v[10:11], v[82:83], s[38:39], v[8:9]
	v_fma_f64 v[8:9], v[82:83], s[38:39], -v[8:9]
	v_add_f64 v[94:95], v[10:11], v[16:17]
	v_mul_f64 v[10:11], v[128:129], s[38:39]
	v_add_f64 v[68:69], v[8:9], v[14:15]
	v_fma_f64 v[8:9], v[6:7], s[36:37], v[10:11]
	v_fma_f64 v[12:13], v[6:7], s[40:41], v[10:11]
	v_add_f64 v[70:71], v[8:9], v[18:19]
	v_mul_f64 v[8:9], v[130:131], s[20:21]
	v_add_f64 v[96:97], v[12:13], v[20:21]
	v_fma_f64 v[10:11], v[82:83], s[18:19], v[8:9]
	v_fma_f64 v[8:9], v[82:83], s[18:19], -v[8:9]
	v_add_f64 v[98:99], v[10:11], v[24:25]
	v_mul_f64 v[10:11], v[128:129], s[18:19]
	v_add_f64 v[76:77], v[8:9], v[106:107]
	v_fma_f64 v[8:9], v[6:7], s[20:21], v[10:11]
	v_fma_f64 v[12:13], v[6:7], s[16:17], v[10:11]
	v_add_f64 v[78:79], v[8:9], v[22:23]
	v_mul_f64 v[8:9], v[130:131], s[28:29]
	v_add_f64 v[100:101], v[12:13], v[104:105]
	v_fma_f64 v[10:11], v[82:83], s[30:31], v[8:9]
	v_fma_f64 v[8:9], v[82:83], s[30:31], -v[8:9]
	v_add_f64 v[102:103], v[10:11], v[120:121]
	v_mul_f64 v[10:11], v[128:129], s[30:31]
	v_add_f64 v[72:73], v[8:9], v[26:27]
	v_fma_f64 v[8:9], v[6:7], s[28:29], v[10:11]
	v_fma_f64 v[12:13], v[6:7], s[34:35], v[10:11]
	v_add_f64 v[74:75], v[8:9], v[124:125]
	v_mul_f64 v[8:9], v[130:131], s[10:11]
	v_add_f64 v[104:105], v[12:13], v[122:123]
	v_fma_f64 v[10:11], v[82:83], s[8:9], v[8:9]
	v_fma_f64 v[8:9], v[82:83], s[8:9], -v[8:9]
	v_add_f64 v[120:121], v[10:11], v[126:127]
	v_mul_f64 v[10:11], v[128:129], s[8:9]
	v_add_f64 v[80:81], v[8:9], v[80:81]
	v_fma_f64 v[12:13], v[6:7], s[2:3], v[10:11]
	v_fma_f64 v[6:7], v[6:7], s[10:11], v[10:11]
	v_add_f64 v[122:123], v[12:13], v[84:85]
	v_add_f64 v[82:83], v[6:7], v[4:5]
	ds_write_b128 v236, v[0:3]
	ds_write_b128 v236, v[86:89] offset:272
	ds_write_b128 v236, v[90:93] offset:544
	;; [unrolled: 1-line block ×12, first 2 shown]
	s_waitcnt lgkmcnt(0)
	s_barrier
	buffer_gl0_inv
	ds_read_b128 v[0:3], v255
	ds_read_b128 v[104:107], v255 offset:3536
	ds_read_b128 v[92:95], v255 offset:7072
	;; [unrolled: 1-line block ×7, first 2 shown]
	s_and_saveexec_b32 s1, s0
	s_cbranch_execz .LBB0_19
; %bb.18:
	ds_read_b128 v[72:75], v255 offset:2176
	ds_read_b128 v[76:79], v255 offset:5712
	;; [unrolled: 1-line block ×8, first 2 shown]
.LBB0_19:
	s_or_b32 exec_lo, exec_lo, s1
	s_clause 0x7
	buffer_load_dword v36, off, s[60:63], 0 offset:28
	buffer_load_dword v37, off, s[60:63], 0 offset:32
	;; [unrolled: 1-line block ×8, first 2 shown]
	s_waitcnt lgkmcnt(6)
	v_mul_f64 v[4:5], v[42:43], v[106:107]
	v_mul_f64 v[6:7], v[42:43], v[104:105]
	s_waitcnt lgkmcnt(5)
	v_mul_f64 v[8:9], v[46:47], v[94:95]
	v_mul_f64 v[10:11], v[46:47], v[92:93]
	s_waitcnt lgkmcnt(1)
	v_mul_f64 v[16:17], v[58:59], v[102:103]
	v_mul_f64 v[18:19], v[58:59], v[100:101]
	v_mul_f64 v[20:21], v[50:51], v[90:91]
	v_mul_f64 v[22:23], v[50:51], v[88:89]
	s_mov_b32 s2, 0x667f3bcd
	s_mov_b32 s3, 0xbfe6a09e
	;; [unrolled: 1-line block ×4, first 2 shown]
	v_fma_f64 v[4:5], v[40:41], v[104:105], v[4:5]
	v_fma_f64 v[6:7], v[40:41], v[106:107], -v[6:7]
	v_fma_f64 v[8:9], v[44:45], v[92:93], v[8:9]
	v_fma_f64 v[10:11], v[44:45], v[94:95], -v[10:11]
	;; [unrolled: 2-line block ×4, first 2 shown]
	v_add_f64 v[16:17], v[8:9], -v[16:17]
	v_add_f64 v[18:19], v[10:11], -v[18:19]
	;; [unrolled: 1-line block ×4, first 2 shown]
	v_fma_f64 v[8:9], v[8:9], 2.0, -v[16:17]
	v_fma_f64 v[10:11], v[10:11], 2.0, -v[18:19]
	;; [unrolled: 1-line block ×4, first 2 shown]
	s_waitcnt vmcnt(4)
	v_mul_f64 v[12:13], v[38:39], v[98:99]
	v_mul_f64 v[14:15], v[38:39], v[96:97]
	s_waitcnt vmcnt(0)
	v_mul_f64 v[24:25], v[34:35], v[82:83]
	v_mul_f64 v[26:27], v[34:35], v[80:81]
	s_waitcnt lgkmcnt(0)
	v_mul_f64 v[34:35], v[54:55], v[86:87]
	v_mul_f64 v[38:39], v[54:55], v[84:85]
	v_fma_f64 v[12:13], v[36:37], v[96:97], v[12:13]
	v_fma_f64 v[14:15], v[36:37], v[98:99], -v[14:15]
	v_fma_f64 v[24:25], v[32:33], v[80:81], v[24:25]
	v_fma_f64 v[26:27], v[32:33], v[82:83], -v[26:27]
	;; [unrolled: 2-line block ×3, first 2 shown]
	v_add_f64 v[12:13], v[0:1], -v[12:13]
	v_add_f64 v[14:15], v[2:3], -v[14:15]
	;; [unrolled: 1-line block ×4, first 2 shown]
	v_fma_f64 v[0:1], v[0:1], 2.0, -v[12:13]
	v_fma_f64 v[2:3], v[2:3], 2.0, -v[14:15]
	v_add_f64 v[18:19], v[12:13], v[18:19]
	v_add_f64 v[16:17], v[14:15], -v[16:17]
	v_fma_f64 v[24:25], v[24:25], 2.0, -v[32:33]
	v_fma_f64 v[26:27], v[26:27], 2.0, -v[34:35]
	v_add_f64 v[34:35], v[20:21], v[34:35]
	v_add_f64 v[32:33], v[22:23], -v[32:33]
	v_add_f64 v[8:9], v[0:1], -v[8:9]
	;; [unrolled: 1-line block ×3, first 2 shown]
	v_fma_f64 v[12:13], v[12:13], 2.0, -v[18:19]
	v_fma_f64 v[14:15], v[14:15], 2.0, -v[16:17]
	v_add_f64 v[24:25], v[4:5], -v[24:25]
	v_add_f64 v[26:27], v[6:7], -v[26:27]
	v_fma_f64 v[20:21], v[20:21], 2.0, -v[34:35]
	v_fma_f64 v[22:23], v[22:23], 2.0, -v[32:33]
	v_fma_f64 v[36:37], v[34:35], s[8:9], v[18:19]
	v_fma_f64 v[38:39], v[32:33], s[8:9], v[16:17]
	v_fma_f64 v[48:49], v[0:1], 2.0, -v[8:9]
	v_fma_f64 v[50:51], v[2:3], 2.0, -v[10:11]
	v_fma_f64 v[40:41], v[4:5], 2.0, -v[24:25]
	v_fma_f64 v[42:43], v[6:7], 2.0, -v[26:27]
	v_fma_f64 v[44:45], v[20:21], s[2:3], v[12:13]
	v_fma_f64 v[46:47], v[22:23], s[2:3], v[14:15]
	v_add_f64 v[0:1], v[8:9], v[26:27]
	v_add_f64 v[2:3], v[10:11], -v[24:25]
	v_fma_f64 v[4:5], v[32:33], s[8:9], v[36:37]
	v_fma_f64 v[6:7], v[34:35], s[2:3], v[38:39]
	v_add_f64 v[32:33], v[48:49], -v[40:41]
	v_add_f64 v[34:35], v[50:51], -v[42:43]
	v_fma_f64 v[36:37], v[22:23], s[8:9], v[44:45]
	v_fma_f64 v[38:39], v[20:21], s[2:3], v[46:47]
	v_fma_f64 v[40:41], v[8:9], 2.0, -v[0:1]
	v_fma_f64 v[42:43], v[10:11], 2.0, -v[2:3]
	;; [unrolled: 1-line block ×8, first 2 shown]
	ds_write_b128 v255, v[0:3] offset:21216
	ds_write_b128 v255, v[40:43] offset:7072
	;; [unrolled: 1-line block ×5, first 2 shown]
	ds_write_b128 v255, v[48:51]
	ds_write_b128 v255, v[52:55] offset:3536
	ds_write_b128 v255, v[4:7] offset:24752
	s_and_saveexec_b32 s1, s0
	s_cbranch_execz .LBB0_21
; %bb.20:
	s_clause 0x17
	buffer_load_dword v44, off, s[60:63], 0 offset:96
	buffer_load_dword v45, off, s[60:63], 0 offset:100
	buffer_load_dword v46, off, s[60:63], 0 offset:104
	buffer_load_dword v47, off, s[60:63], 0 offset:108
	buffer_load_dword v40, off, s[60:63], 0 offset:80
	buffer_load_dword v41, off, s[60:63], 0 offset:84
	buffer_load_dword v42, off, s[60:63], 0 offset:88
	buffer_load_dword v43, off, s[60:63], 0 offset:92
	buffer_load_dword v32, off, s[60:63], 0 offset:48
	buffer_load_dword v33, off, s[60:63], 0 offset:52
	buffer_load_dword v34, off, s[60:63], 0 offset:56
	buffer_load_dword v35, off, s[60:63], 0 offset:60
	buffer_load_dword v48, off, s[60:63], 0 offset:112
	buffer_load_dword v49, off, s[60:63], 0 offset:116
	buffer_load_dword v50, off, s[60:63], 0 offset:120
	buffer_load_dword v51, off, s[60:63], 0 offset:124
	buffer_load_dword v36, off, s[60:63], 0 offset:64
	buffer_load_dword v37, off, s[60:63], 0 offset:68
	buffer_load_dword v38, off, s[60:63], 0 offset:72
	buffer_load_dword v39, off, s[60:63], 0 offset:76
	buffer_load_dword v52, off, s[60:63], 0 offset:128
	buffer_load_dword v53, off, s[60:63], 0 offset:132
	buffer_load_dword v54, off, s[60:63], 0 offset:136
	buffer_load_dword v55, off, s[60:63], 0 offset:140
	v_mul_f64 v[4:5], v[30:31], v[114:115]
	v_mul_f64 v[18:19], v[30:31], v[112:113]
	v_fma_f64 v[4:5], v[28:29], v[112:113], v[4:5]
	v_fma_f64 v[18:19], v[28:29], v[114:115], -v[18:19]
	s_waitcnt vmcnt(20)
	v_mul_f64 v[0:1], v[46:47], v[60:61]
	s_waitcnt vmcnt(16)
	v_mul_f64 v[2:3], v[42:43], v[70:71]
	;; [unrolled: 2-line block ×6, first 2 shown]
	v_mul_f64 v[14:15], v[34:35], v[78:79]
	v_mul_f64 v[16:17], v[42:43], v[68:69]
	;; [unrolled: 1-line block ×6, first 2 shown]
	v_fma_f64 v[0:1], v[44:45], v[62:63], -v[0:1]
	v_fma_f64 v[2:3], v[40:41], v[68:69], v[2:3]
	v_fma_f64 v[6:7], v[32:33], v[78:79], -v[6:7]
	v_fma_f64 v[8:9], v[48:49], v[118:119], -v[8:9]
	v_fma_f64 v[10:11], v[36:37], v[64:65], v[10:11]
	v_fma_f64 v[12:13], v[52:53], v[108:109], v[12:13]
	;; [unrolled: 1-line block ×3, first 2 shown]
	v_fma_f64 v[16:17], v[40:41], v[70:71], -v[16:17]
	v_fma_f64 v[20:21], v[48:49], v[116:117], v[20:21]
	v_fma_f64 v[22:23], v[44:45], v[60:61], v[22:23]
	v_fma_f64 v[24:25], v[36:37], v[66:67], -v[24:25]
	v_fma_f64 v[26:27], v[52:53], v[110:111], -v[26:27]
	v_add_f64 v[0:1], v[74:75], -v[0:1]
	v_add_f64 v[4:5], v[2:3], -v[4:5]
	;; [unrolled: 1-line block ×8, first 2 shown]
	v_fma_f64 v[32:33], v[74:75], 2.0, -v[0:1]
	v_add_f64 v[28:29], v[0:1], -v[4:5]
	v_fma_f64 v[2:3], v[2:3], 2.0, -v[4:5]
	v_fma_f64 v[6:7], v[6:7], 2.0, -v[8:9]
	v_add_f64 v[30:31], v[8:9], -v[12:13]
	v_fma_f64 v[10:11], v[10:11], 2.0, -v[12:13]
	v_fma_f64 v[16:17], v[16:17], 2.0, -v[18:19]
	;; [unrolled: 1-line block ×5, first 2 shown]
	v_add_f64 v[4:5], v[26:27], v[20:21]
	v_add_f64 v[26:27], v[18:19], v[22:23]
	v_fma_f64 v[34:35], v[0:1], 2.0, -v[28:29]
	v_fma_f64 v[8:9], v[8:9], 2.0, -v[30:31]
	v_add_f64 v[16:17], v[32:33], -v[16:17]
	v_add_f64 v[0:1], v[14:15], -v[10:11]
	;; [unrolled: 1-line block ×4, first 2 shown]
	v_fma_f64 v[18:19], v[20:21], 2.0, -v[4:5]
	v_fma_f64 v[36:37], v[22:23], 2.0, -v[26:27]
	v_fma_f64 v[2:3], v[30:31], s[8:9], v[28:29]
	v_fma_f64 v[20:21], v[4:5], s[8:9], v[26:27]
	v_fma_f64 v[22:23], v[8:9], s[2:3], v[34:35]
	v_fma_f64 v[32:33], v[32:33], 2.0, -v[16:17]
	v_fma_f64 v[38:39], v[6:7], 2.0, -v[10:11]
	;; [unrolled: 1-line block ×4, first 2 shown]
	v_fma_f64 v[42:43], v[18:19], s[2:3], v[36:37]
	v_fma_f64 v[2:3], v[4:5], s[2:3], v[2:3]
	v_add_f64 v[6:7], v[16:17], -v[0:1]
	v_add_f64 v[4:5], v[24:25], v[10:11]
	v_fma_f64 v[0:1], v[30:31], s[8:9], v[20:21]
	v_fma_f64 v[10:11], v[18:19], s[2:3], v[22:23]
	v_add_f64 v[14:15], v[32:33], -v[38:39]
	v_add_f64 v[12:13], v[40:41], -v[12:13]
	v_fma_f64 v[8:9], v[8:9], s[8:9], v[42:43]
	v_fma_f64 v[18:19], v[28:29], 2.0, -v[2:3]
	v_fma_f64 v[22:23], v[16:17], 2.0, -v[6:7]
	v_fma_f64 v[20:21], v[24:25], 2.0, -v[4:5]
	v_fma_f64 v[16:17], v[26:27], 2.0, -v[0:1]
	v_fma_f64 v[26:27], v[34:35], 2.0, -v[10:11]
	v_fma_f64 v[30:31], v[32:33], 2.0, -v[14:15]
	v_fma_f64 v[28:29], v[40:41], 2.0, -v[12:13]
	v_fma_f64 v[24:25], v[36:37], 2.0, -v[8:9]
	ds_write_b128 v255, v[4:7] offset:23392
	ds_write_b128 v255, v[20:23] offset:9248
	;; [unrolled: 1-line block ×8, first 2 shown]
.LBB0_21:
	s_or_b32 exec_lo, exec_lo, s1
	s_waitcnt lgkmcnt(0)
	s_barrier
	buffer_gl0_inv
	s_and_b32 exec_lo, exec_lo, vcc_lo
	s_cbranch_execz .LBB0_23
; %bb.22:
	global_load_dwordx4 v[0:3], v255, s[12:13]
	ds_read_b128 v[4:7], v255
	ds_read_b128 v[8:11], v255 offset:1664
	ds_read_b128 v[12:15], v255 offset:26624
	s_clause 0x2
	buffer_load_dword v18, off, s[60:63], 0 offset:4
	buffer_load_dword v19, off, s[60:63], 0 offset:8
	buffer_load_dword v21, off, s[60:63], 0
	s_mov_b32 s0, 0x1288b013
	s_mov_b32 s1, 0x3f4288b0
	v_add_co_u32 v24, s2, s12, v255
	v_add_co_ci_u32_e64 v25, null, s13, 0, s2
	s_mul_i32 s2, s5, 0x680
	s_mul_hi_u32 s3, s4, 0x680
	s_add_i32 s3, s3, s2
	s_waitcnt vmcnt(3) lgkmcnt(2)
	v_mul_f64 v[16:17], v[6:7], v[2:3]
	v_mul_f64 v[2:3], v[4:5], v[2:3]
	s_waitcnt vmcnt(2)
	v_mov_b32_e32 v20, v18
	s_waitcnt vmcnt(1)
	v_mad_u64_u32 v[18:19], null, s6, v20, 0
	s_mul_i32 s6, s4, 0x680
	v_fma_f64 v[4:5], v[4:5], v[0:1], v[16:17]
	v_fma_f64 v[2:3], v[0:1], v[6:7], -v[2:3]
	s_waitcnt vmcnt(0)
	v_mad_u64_u32 v[6:7], null, s4, v21, 0
	v_mov_b32_e32 v0, v19
	v_mov_b32_e32 v1, v7
	v_mad_u64_u32 v[16:17], null, s7, v20, v[0:1]
	v_mov_b32_e32 v19, v16
	v_mad_u64_u32 v[20:21], null, s5, v21, v[1:2]
	v_mul_f64 v[0:1], v[4:5], s[0:1]
	v_mul_f64 v[2:3], v[2:3], s[0:1]
	v_lshlrev_b64 v[4:5], 4, v[18:19]
	v_mov_b32_e32 v7, v20
	v_add_co_u32 v22, vcc_lo, s14, v4
	v_add_co_ci_u32_e32 v23, vcc_lo, s15, v5, vcc_lo
	v_lshlrev_b64 v[6:7], 4, v[6:7]
	v_add_co_u32 v4, vcc_lo, v22, v6
	v_add_co_ci_u32_e32 v5, vcc_lo, v23, v7, vcc_lo
	v_add_co_u32 v16, vcc_lo, v4, s6
	global_store_dwordx4 v[4:5], v[0:3], off
	global_load_dwordx4 v[0:3], v255, s[12:13] offset:1664
	v_add_co_ci_u32_e32 v17, vcc_lo, s3, v5, vcc_lo
	v_add_co_u32 v4, vcc_lo, 0x800, v24
	v_add_co_ci_u32_e32 v5, vcc_lo, 0, v25, vcc_lo
	s_waitcnt vmcnt(0) lgkmcnt(1)
	v_mul_f64 v[6:7], v[10:11], v[2:3]
	v_mul_f64 v[2:3], v[8:9], v[2:3]
	v_fma_f64 v[6:7], v[8:9], v[0:1], v[6:7]
	v_fma_f64 v[2:3], v[0:1], v[10:11], -v[2:3]
	v_mul_f64 v[0:1], v[6:7], s[0:1]
	v_mul_f64 v[2:3], v[2:3], s[0:1]
	global_store_dwordx4 v[16:17], v[0:3], off
	global_load_dwordx4 v[0:3], v[4:5], off offset:1280
	ds_read_b128 v[4:7], v255 offset:3328
	ds_read_b128 v[8:11], v255 offset:4992
	s_waitcnt vmcnt(0) lgkmcnt(1)
	v_mul_f64 v[18:19], v[6:7], v[2:3]
	v_mul_f64 v[2:3], v[4:5], v[2:3]
	v_fma_f64 v[4:5], v[4:5], v[0:1], v[18:19]
	v_fma_f64 v[2:3], v[0:1], v[6:7], -v[2:3]
	v_mul_f64 v[0:1], v[4:5], s[0:1]
	v_mul_f64 v[2:3], v[2:3], s[0:1]
	v_add_co_u32 v4, vcc_lo, v16, s6
	v_add_co_ci_u32_e32 v5, vcc_lo, s3, v17, vcc_lo
	v_add_co_u32 v6, vcc_lo, 0x1000, v24
	v_add_co_ci_u32_e32 v7, vcc_lo, 0, v25, vcc_lo
	v_add_co_u32 v16, vcc_lo, v4, s6
	v_add_co_ci_u32_e32 v17, vcc_lo, s3, v5, vcc_lo
	global_store_dwordx4 v[4:5], v[0:3], off
	global_load_dwordx4 v[0:3], v[6:7], off offset:896
	v_add_co_u32 v4, vcc_lo, 0x1800, v24
	v_add_co_ci_u32_e32 v5, vcc_lo, 0, v25, vcc_lo
	s_waitcnt vmcnt(0) lgkmcnt(0)
	v_mul_f64 v[6:7], v[10:11], v[2:3]
	v_mul_f64 v[2:3], v[8:9], v[2:3]
	v_fma_f64 v[6:7], v[8:9], v[0:1], v[6:7]
	v_fma_f64 v[2:3], v[0:1], v[10:11], -v[2:3]
	v_mul_f64 v[0:1], v[6:7], s[0:1]
	v_mul_f64 v[2:3], v[2:3], s[0:1]
	global_store_dwordx4 v[16:17], v[0:3], off
	global_load_dwordx4 v[0:3], v[4:5], off offset:512
	ds_read_b128 v[4:7], v255 offset:6656
	ds_read_b128 v[8:11], v255 offset:8320
	s_waitcnt vmcnt(0) lgkmcnt(1)
	v_mul_f64 v[18:19], v[6:7], v[2:3]
	v_mul_f64 v[2:3], v[4:5], v[2:3]
	v_fma_f64 v[4:5], v[4:5], v[0:1], v[18:19]
	v_fma_f64 v[2:3], v[0:1], v[6:7], -v[2:3]
	v_mul_f64 v[0:1], v[4:5], s[0:1]
	v_mul_f64 v[2:3], v[2:3], s[0:1]
	v_add_co_u32 v4, vcc_lo, v16, s6
	v_add_co_ci_u32_e32 v5, vcc_lo, s3, v17, vcc_lo
	v_add_co_u32 v6, vcc_lo, 0x2000, v24
	v_add_co_ci_u32_e32 v7, vcc_lo, 0, v25, vcc_lo
	global_store_dwordx4 v[4:5], v[0:3], off
	global_load_dwordx4 v[0:3], v[6:7], off offset:128
	s_waitcnt vmcnt(0) lgkmcnt(0)
	v_mul_f64 v[16:17], v[10:11], v[2:3]
	v_mul_f64 v[2:3], v[8:9], v[2:3]
	v_fma_f64 v[8:9], v[8:9], v[0:1], v[16:17]
	v_fma_f64 v[2:3], v[0:1], v[10:11], -v[2:3]
	v_add_co_u32 v16, vcc_lo, v4, s6
	v_add_co_ci_u32_e32 v17, vcc_lo, s3, v5, vcc_lo
	v_mul_f64 v[0:1], v[8:9], s[0:1]
	v_mul_f64 v[2:3], v[2:3], s[0:1]
	global_store_dwordx4 v[16:17], v[0:3], off
	global_load_dwordx4 v[0:3], v[6:7], off offset:1792
	ds_read_b128 v[4:7], v255 offset:9984
	ds_read_b128 v[8:11], v255 offset:11648
	s_waitcnt vmcnt(0) lgkmcnt(1)
	v_mul_f64 v[18:19], v[6:7], v[2:3]
	v_mul_f64 v[2:3], v[4:5], v[2:3]
	v_fma_f64 v[4:5], v[4:5], v[0:1], v[18:19]
	v_fma_f64 v[2:3], v[0:1], v[6:7], -v[2:3]
	v_mul_f64 v[0:1], v[4:5], s[0:1]
	v_mul_f64 v[2:3], v[2:3], s[0:1]
	v_add_co_u32 v4, vcc_lo, v16, s6
	v_add_co_ci_u32_e32 v5, vcc_lo, s3, v17, vcc_lo
	v_add_co_u32 v6, vcc_lo, 0x2800, v24
	v_add_co_ci_u32_e32 v7, vcc_lo, 0, v25, vcc_lo
	;; [unrolled: 2-line block ×3, first 2 shown]
	global_store_dwordx4 v[4:5], v[0:3], off
	global_load_dwordx4 v[0:3], v[6:7], off offset:1408
	v_add_co_u32 v4, vcc_lo, 0x3000, v24
	v_add_co_ci_u32_e32 v5, vcc_lo, 0, v25, vcc_lo
	s_waitcnt vmcnt(0) lgkmcnt(0)
	v_mul_f64 v[6:7], v[10:11], v[2:3]
	v_mul_f64 v[2:3], v[8:9], v[2:3]
	v_fma_f64 v[6:7], v[8:9], v[0:1], v[6:7]
	v_fma_f64 v[2:3], v[0:1], v[10:11], -v[2:3]
	v_mul_f64 v[0:1], v[6:7], s[0:1]
	v_mul_f64 v[2:3], v[2:3], s[0:1]
	global_store_dwordx4 v[16:17], v[0:3], off
	global_load_dwordx4 v[0:3], v[4:5], off offset:1024
	ds_read_b128 v[4:7], v255 offset:13312
	ds_read_b128 v[8:11], v255 offset:14976
	s_waitcnt vmcnt(0) lgkmcnt(1)
	v_mul_f64 v[18:19], v[6:7], v[2:3]
	v_mul_f64 v[2:3], v[4:5], v[2:3]
	v_fma_f64 v[4:5], v[4:5], v[0:1], v[18:19]
	v_fma_f64 v[2:3], v[0:1], v[6:7], -v[2:3]
	v_mul_f64 v[0:1], v[4:5], s[0:1]
	v_mul_f64 v[2:3], v[2:3], s[0:1]
	v_add_co_u32 v4, vcc_lo, v16, s6
	v_add_co_ci_u32_e32 v5, vcc_lo, s3, v17, vcc_lo
	v_add_co_u32 v6, vcc_lo, 0x3800, v24
	v_add_co_ci_u32_e32 v7, vcc_lo, 0, v25, vcc_lo
	;; [unrolled: 2-line block ×4, first 2 shown]
	global_store_dwordx4 v[4:5], v[0:3], off
	global_load_dwordx4 v[0:3], v[6:7], off offset:640
	s_waitcnt vmcnt(0) lgkmcnt(0)
	v_mul_f64 v[6:7], v[10:11], v[2:3]
	v_mul_f64 v[2:3], v[8:9], v[2:3]
	v_fma_f64 v[6:7], v[8:9], v[0:1], v[6:7]
	v_fma_f64 v[2:3], v[0:1], v[10:11], -v[2:3]
	v_mul_f64 v[0:1], v[6:7], s[0:1]
	v_mul_f64 v[2:3], v[2:3], s[0:1]
	global_store_dwordx4 v[16:17], v[0:3], off
	global_load_dwordx4 v[0:3], v[18:19], off offset:256
	ds_read_b128 v[4:7], v255 offset:16640
	ds_read_b128 v[8:11], v255 offset:18304
	s_waitcnt vmcnt(0) lgkmcnt(1)
	v_mul_f64 v[20:21], v[6:7], v[2:3]
	v_mul_f64 v[2:3], v[4:5], v[2:3]
	v_fma_f64 v[4:5], v[4:5], v[0:1], v[20:21]
	v_fma_f64 v[2:3], v[0:1], v[6:7], -v[2:3]
	v_mul_f64 v[0:1], v[4:5], s[0:1]
	v_mul_f64 v[2:3], v[2:3], s[0:1]
	v_add_co_u32 v4, vcc_lo, v16, s6
	v_add_co_ci_u32_e32 v5, vcc_lo, s3, v17, vcc_lo
	v_add_co_u32 v16, vcc_lo, v4, s6
	v_add_co_ci_u32_e32 v17, vcc_lo, s3, v5, vcc_lo
	global_store_dwordx4 v[4:5], v[0:3], off
	global_load_dwordx4 v[0:3], v[18:19], off offset:1920
	v_add_co_u32 v4, vcc_lo, 0x4800, v24
	v_add_co_ci_u32_e32 v5, vcc_lo, 0, v25, vcc_lo
	s_waitcnt vmcnt(0) lgkmcnt(0)
	v_mul_f64 v[6:7], v[10:11], v[2:3]
	v_mul_f64 v[2:3], v[8:9], v[2:3]
	v_fma_f64 v[6:7], v[8:9], v[0:1], v[6:7]
	v_fma_f64 v[2:3], v[0:1], v[10:11], -v[2:3]
	v_mul_f64 v[0:1], v[6:7], s[0:1]
	v_mul_f64 v[2:3], v[2:3], s[0:1]
	global_store_dwordx4 v[16:17], v[0:3], off
	global_load_dwordx4 v[0:3], v[4:5], off offset:1536
	ds_read_b128 v[4:7], v255 offset:19968
	ds_read_b128 v[8:11], v255 offset:21632
	s_waitcnt vmcnt(0) lgkmcnt(1)
	v_mul_f64 v[18:19], v[6:7], v[2:3]
	v_mul_f64 v[2:3], v[4:5], v[2:3]
	v_fma_f64 v[4:5], v[4:5], v[0:1], v[18:19]
	v_fma_f64 v[2:3], v[0:1], v[6:7], -v[2:3]
	v_mul_f64 v[0:1], v[4:5], s[0:1]
	v_mul_f64 v[2:3], v[2:3], s[0:1]
	v_add_co_u32 v4, vcc_lo, v16, s6
	v_add_co_ci_u32_e32 v5, vcc_lo, s3, v17, vcc_lo
	v_add_co_u32 v6, vcc_lo, 0x5000, v24
	v_add_co_ci_u32_e32 v7, vcc_lo, 0, v25, vcc_lo
	;; [unrolled: 2-line block ×3, first 2 shown]
	global_store_dwordx4 v[4:5], v[0:3], off
	global_load_dwordx4 v[0:3], v[6:7], off offset:1152
	v_add_co_u32 v4, vcc_lo, 0x5800, v24
	v_add_co_ci_u32_e32 v5, vcc_lo, 0, v25, vcc_lo
	s_waitcnt vmcnt(0) lgkmcnt(0)
	v_mul_f64 v[6:7], v[10:11], v[2:3]
	v_mul_f64 v[2:3], v[8:9], v[2:3]
	v_fma_f64 v[6:7], v[8:9], v[0:1], v[6:7]
	v_fma_f64 v[2:3], v[0:1], v[10:11], -v[2:3]
	v_mul_f64 v[0:1], v[6:7], s[0:1]
	v_mul_f64 v[2:3], v[2:3], s[0:1]
	global_store_dwordx4 v[16:17], v[0:3], off
	global_load_dwordx4 v[0:3], v[4:5], off offset:768
	ds_read_b128 v[4:7], v255 offset:23296
	ds_read_b128 v[8:11], v255 offset:24960
	s_waitcnt vmcnt(0) lgkmcnt(1)
	v_mul_f64 v[18:19], v[6:7], v[2:3]
	v_mul_f64 v[2:3], v[4:5], v[2:3]
	v_fma_f64 v[4:5], v[4:5], v[0:1], v[18:19]
	v_fma_f64 v[2:3], v[0:1], v[6:7], -v[2:3]
	v_mul_f64 v[0:1], v[4:5], s[0:1]
	v_mul_f64 v[2:3], v[2:3], s[0:1]
	v_add_co_u32 v4, vcc_lo, v16, s6
	v_add_co_ci_u32_e32 v5, vcc_lo, s3, v17, vcc_lo
	v_add_co_u32 v6, vcc_lo, 0x6000, v24
	v_add_co_ci_u32_e32 v7, vcc_lo, 0, v25, vcc_lo
	global_store_dwordx4 v[4:5], v[0:3], off
	global_load_dwordx4 v[0:3], v[6:7], off offset:384
	v_add_co_u32 v4, vcc_lo, v4, s6
	v_add_co_ci_u32_e32 v5, vcc_lo, s3, v5, vcc_lo
	s_waitcnt vmcnt(0) lgkmcnt(0)
	v_mul_f64 v[6:7], v[10:11], v[2:3]
	v_mul_f64 v[2:3], v[8:9], v[2:3]
	v_fma_f64 v[6:7], v[8:9], v[0:1], v[6:7]
	buffer_load_dword v8, off, s[60:63], 0 offset:44 ; 4-byte Folded Reload
	v_fma_f64 v[2:3], v[0:1], v[10:11], -v[2:3]
	v_mul_f64 v[0:1], v[6:7], s[0:1]
	v_mul_f64 v[2:3], v[2:3], s[0:1]
	global_store_dwordx4 v[4:5], v[0:3], off
	s_waitcnt vmcnt(0)
	v_lshlrev_b32_e32 v6, 4, v8
	global_load_dwordx4 v[0:3], v6, s[12:13]
	v_mad_u64_u32 v[6:7], null, s4, v8, 0
	s_waitcnt vmcnt(0)
	v_mul_f64 v[4:5], v[14:15], v[2:3]
	v_mul_f64 v[2:3], v[12:13], v[2:3]
	v_fma_f64 v[4:5], v[12:13], v[0:1], v[4:5]
	v_fma_f64 v[2:3], v[0:1], v[14:15], -v[2:3]
	v_mov_b32_e32 v0, v7
	v_mad_u64_u32 v[7:8], null, s5, v8, v[0:1]
	v_mul_f64 v[0:1], v[4:5], s[0:1]
	v_mul_f64 v[2:3], v[2:3], s[0:1]
	v_lshlrev_b64 v[4:5], 4, v[6:7]
	v_add_co_u32 v4, vcc_lo, v22, v4
	v_add_co_ci_u32_e32 v5, vcc_lo, v23, v5, vcc_lo
	global_store_dwordx4 v[4:5], v[0:3], off
.LBB0_23:
	s_endpgm
	.section	.rodata,"a",@progbits
	.p2align	6, 0x0
	.amdhsa_kernel bluestein_single_back_len1768_dim1_dp_op_CI_CI
		.amdhsa_group_segment_fixed_size 28288
		.amdhsa_private_segment_fixed_size 452
		.amdhsa_kernarg_size 104
		.amdhsa_user_sgpr_count 6
		.amdhsa_user_sgpr_private_segment_buffer 1
		.amdhsa_user_sgpr_dispatch_ptr 0
		.amdhsa_user_sgpr_queue_ptr 0
		.amdhsa_user_sgpr_kernarg_segment_ptr 1
		.amdhsa_user_sgpr_dispatch_id 0
		.amdhsa_user_sgpr_flat_scratch_init 0
		.amdhsa_user_sgpr_private_segment_size 0
		.amdhsa_wavefront_size32 1
		.amdhsa_uses_dynamic_stack 0
		.amdhsa_system_sgpr_private_segment_wavefront_offset 1
		.amdhsa_system_sgpr_workgroup_id_x 1
		.amdhsa_system_sgpr_workgroup_id_y 0
		.amdhsa_system_sgpr_workgroup_id_z 0
		.amdhsa_system_sgpr_workgroup_info 0
		.amdhsa_system_vgpr_workitem_id 0
		.amdhsa_next_free_vgpr 256
		.amdhsa_next_free_sgpr 64
		.amdhsa_reserve_vcc 1
		.amdhsa_reserve_flat_scratch 0
		.amdhsa_float_round_mode_32 0
		.amdhsa_float_round_mode_16_64 0
		.amdhsa_float_denorm_mode_32 3
		.amdhsa_float_denorm_mode_16_64 3
		.amdhsa_dx10_clamp 1
		.amdhsa_ieee_mode 1
		.amdhsa_fp16_overflow 0
		.amdhsa_workgroup_processor_mode 1
		.amdhsa_memory_ordered 1
		.amdhsa_forward_progress 0
		.amdhsa_shared_vgpr_count 0
		.amdhsa_exception_fp_ieee_invalid_op 0
		.amdhsa_exception_fp_denorm_src 0
		.amdhsa_exception_fp_ieee_div_zero 0
		.amdhsa_exception_fp_ieee_overflow 0
		.amdhsa_exception_fp_ieee_underflow 0
		.amdhsa_exception_fp_ieee_inexact 0
		.amdhsa_exception_int_div_zero 0
	.end_amdhsa_kernel
	.text
.Lfunc_end0:
	.size	bluestein_single_back_len1768_dim1_dp_op_CI_CI, .Lfunc_end0-bluestein_single_back_len1768_dim1_dp_op_CI_CI
                                        ; -- End function
	.section	.AMDGPU.csdata,"",@progbits
; Kernel info:
; codeLenInByte = 33704
; NumSgprs: 66
; NumVgprs: 256
; ScratchSize: 452
; MemoryBound: 0
; FloatMode: 240
; IeeeMode: 1
; LDSByteSize: 28288 bytes/workgroup (compile time only)
; SGPRBlocks: 8
; VGPRBlocks: 31
; NumSGPRsForWavesPerEU: 66
; NumVGPRsForWavesPerEU: 256
; Occupancy: 4
; WaveLimiterHint : 1
; COMPUTE_PGM_RSRC2:SCRATCH_EN: 1
; COMPUTE_PGM_RSRC2:USER_SGPR: 6
; COMPUTE_PGM_RSRC2:TRAP_HANDLER: 0
; COMPUTE_PGM_RSRC2:TGID_X_EN: 1
; COMPUTE_PGM_RSRC2:TGID_Y_EN: 0
; COMPUTE_PGM_RSRC2:TGID_Z_EN: 0
; COMPUTE_PGM_RSRC2:TIDIG_COMP_CNT: 0
	.text
	.p2alignl 6, 3214868480
	.fill 48, 4, 3214868480
	.type	__hip_cuid_657b7560a9647416,@object ; @__hip_cuid_657b7560a9647416
	.section	.bss,"aw",@nobits
	.globl	__hip_cuid_657b7560a9647416
__hip_cuid_657b7560a9647416:
	.byte	0                               ; 0x0
	.size	__hip_cuid_657b7560a9647416, 1

	.ident	"AMD clang version 19.0.0git (https://github.com/RadeonOpenCompute/llvm-project roc-6.4.0 25133 c7fe45cf4b819c5991fe208aaa96edf142730f1d)"
	.section	".note.GNU-stack","",@progbits
	.addrsig
	.addrsig_sym __hip_cuid_657b7560a9647416
	.amdgpu_metadata
---
amdhsa.kernels:
  - .args:
      - .actual_access:  read_only
        .address_space:  global
        .offset:         0
        .size:           8
        .value_kind:     global_buffer
      - .actual_access:  read_only
        .address_space:  global
        .offset:         8
        .size:           8
        .value_kind:     global_buffer
      - .actual_access:  read_only
        .address_space:  global
        .offset:         16
        .size:           8
        .value_kind:     global_buffer
      - .actual_access:  read_only
        .address_space:  global
        .offset:         24
        .size:           8
        .value_kind:     global_buffer
      - .actual_access:  read_only
        .address_space:  global
        .offset:         32
        .size:           8
        .value_kind:     global_buffer
      - .offset:         40
        .size:           8
        .value_kind:     by_value
      - .address_space:  global
        .offset:         48
        .size:           8
        .value_kind:     global_buffer
      - .address_space:  global
        .offset:         56
        .size:           8
        .value_kind:     global_buffer
      - .address_space:  global
        .offset:         64
        .size:           8
        .value_kind:     global_buffer
      - .address_space:  global
        .offset:         72
        .size:           8
        .value_kind:     global_buffer
      - .offset:         80
        .size:           4
        .value_kind:     by_value
      - .address_space:  global
        .offset:         88
        .size:           8
        .value_kind:     global_buffer
      - .address_space:  global
        .offset:         96
        .size:           8
        .value_kind:     global_buffer
    .group_segment_fixed_size: 28288
    .kernarg_segment_align: 8
    .kernarg_segment_size: 104
    .language:       OpenCL C
    .language_version:
      - 2
      - 0
    .max_flat_workgroup_size: 136
    .name:           bluestein_single_back_len1768_dim1_dp_op_CI_CI
    .private_segment_fixed_size: 452
    .sgpr_count:     66
    .sgpr_spill_count: 0
    .symbol:         bluestein_single_back_len1768_dim1_dp_op_CI_CI.kd
    .uniform_work_group_size: 1
    .uses_dynamic_stack: false
    .vgpr_count:     256
    .vgpr_spill_count: 140
    .wavefront_size: 32
    .workgroup_processor_mode: 1
amdhsa.target:   amdgcn-amd-amdhsa--gfx1030
amdhsa.version:
  - 1
  - 2
...

	.end_amdgpu_metadata
